;; amdgpu-corpus repo=ROCm/rocFFT kind=compiled arch=gfx906 opt=O3
	.text
	.amdgcn_target "amdgcn-amd-amdhsa--gfx906"
	.amdhsa_code_object_version 6
	.protected	bluestein_single_back_len1386_dim1_half_op_CI_CI ; -- Begin function bluestein_single_back_len1386_dim1_half_op_CI_CI
	.globl	bluestein_single_back_len1386_dim1_half_op_CI_CI
	.p2align	8
	.type	bluestein_single_back_len1386_dim1_half_op_CI_CI,@function
bluestein_single_back_len1386_dim1_half_op_CI_CI: ; @bluestein_single_back_len1386_dim1_half_op_CI_CI
; %bb.0:
	s_load_dwordx4 s[16:19], s[4:5], 0x28
	v_mul_u32_u24_e32 v1, 0x11c, v0
	v_add_u32_sdwa v12, s6, v1 dst_sel:DWORD dst_unused:UNUSED_PAD src0_sel:DWORD src1_sel:WORD_1
	v_mov_b32_e32 v13, 0
	s_waitcnt lgkmcnt(0)
	v_cmp_gt_u64_e32 vcc, s[16:17], v[12:13]
	s_and_saveexec_b64 s[0:1], vcc
	s_cbranch_execz .LBB0_18
; %bb.1:
	s_load_dwordx4 s[0:3], s[4:5], 0x18
	s_load_dwordx4 s[12:15], s[4:5], 0x0
	v_mov_b32_e32 v8, 0xfffff8c8
	s_load_dwordx2 s[4:5], s[4:5], 0x38
                                        ; implicit-def: $vgpr15
                                        ; implicit-def: $vgpr18
	s_waitcnt lgkmcnt(0)
	s_load_dwordx4 s[8:11], s[0:1], 0x0
	s_movk_i32 s0, 0xe7
	v_mul_lo_u16_sdwa v1, v1, s0 dst_sel:DWORD dst_unused:UNUSED_PAD src0_sel:WORD_1 src1_sel:DWORD
	v_sub_u16_e32 v39, v0, v1
	v_lshlrev_b32_e32 v42, 2, v39
	s_waitcnt lgkmcnt(0)
	v_mad_u64_u32 v[0:1], s[6:7], s10, v12, 0
	v_mad_u64_u32 v[2:3], s[6:7], s8, v39, 0
	s_mul_i32 s1, s9, 0xad4
	s_mul_i32 s10, s8, 0xad4
	v_mad_u64_u32 v[4:5], s[6:7], s11, v12, v[1:2]
	global_load_dword v41, v42, s[12:13]
	v_lshlrev_b32_e32 v46, 3, v39
	v_mad_u64_u32 v[5:6], s[6:7], s9, v39, v[3:4]
	v_mov_b32_e32 v1, v4
	v_lshlrev_b64 v[0:1], 2, v[0:1]
	v_mov_b32_e32 v6, s19
	v_mov_b32_e32 v3, v5
	v_add_co_u32_e32 v4, vcc, s18, v0
	v_addc_co_u32_e32 v5, vcc, v6, v1, vcc
	v_lshlrev_b64 v[0:1], 2, v[2:3]
	v_mov_b32_e32 v2, s13
	v_add_co_u32_e32 v0, vcc, v4, v0
	v_addc_co_u32_e32 v1, vcc, v5, v1, vcc
	v_add_co_u32_e32 v4, vcc, s12, v42
	s_mul_hi_u32 s6, s8, 0xad4
	v_addc_co_u32_e32 v5, vcc, 0, v2, vcc
	s_add_i32 s1, s6, s1
	v_mov_b32_e32 v3, s1
	v_add_co_u32_e32 v2, vcc, s10, v0
	v_addc_co_u32_e32 v3, vcc, v1, v3, vcc
	global_load_dword v6, v[0:1], off
	global_load_dword v7, v[2:3], off
	v_mad_u64_u32 v[0:1], s[6:7], s8, v8, v[2:3]
	s_mul_i32 s6, s9, 0xfffff8c8
	s_sub_i32 s9, s6, s8
	v_add_u32_e32 v1, s9, v1
	global_load_dword v40, v42, s[12:13] offset:2772
	global_load_dword v9, v[0:1], off
	v_mov_b32_e32 v2, s1
	v_add_co_u32_e32 v0, vcc, s10, v0
	v_addc_co_u32_e32 v1, vcc, v1, v2, vcc
	v_mad_u64_u32 v[2:3], s[6:7], s8, v8, v[0:1]
	global_load_dword v38, v42, s[12:13] offset:924
	global_load_dword v8, v[0:1], off
	global_load_dword v37, v42, s[12:13] offset:3696
	v_mov_b32_e32 v1, s1
	v_add_u32_e32 v3, s9, v3
	v_add_co_u32_e32 v0, vcc, s10, v2
	v_addc_co_u32_e32 v1, vcc, v3, v1, vcc
	s_movk_i32 s1, 0x1000
	global_load_dword v10, v[2:3], off
	global_load_dword v36, v42, s[12:13] offset:1848
	s_nop 0
	global_load_dword v2, v[0:1], off
	v_add_co_u32_e32 v0, vcc, s1, v4
	v_addc_co_u32_e32 v1, vcc, 0, v5, vcc
	global_load_dword v35, v[0:1], off offset:524
	v_add_u32_e32 v4, 0xe40, v42
	s_load_dwordx4 s[8:11], s[2:3], 0x0
	s_waitcnt vmcnt(10)
	v_lshrrev_b32_e32 v0, 16, v6
	v_mul_f16_sdwa v1, v41, v6 dst_sel:DWORD dst_unused:UNUSED_PAD src0_sel:WORD_1 src1_sel:DWORD
	v_mul_f16_sdwa v3, v41, v0 dst_sel:DWORD dst_unused:UNUSED_PAD src0_sel:WORD_1 src1_sel:DWORD
	v_fma_f16 v0, v41, v0, -v1
	s_waitcnt vmcnt(9)
	v_lshrrev_b32_e32 v1, 16, v7
	v_fma_f16 v3, v41, v6, v3
	v_pack_b32_f16 v0, v3, v0
	s_waitcnt vmcnt(8)
	v_mul_f16_sdwa v5, v40, v7 dst_sel:DWORD dst_unused:UNUSED_PAD src0_sel:WORD_1 src1_sel:DWORD
	v_fma_f16 v5, v40, v1, -v5
	v_mul_f16_sdwa v1, v40, v1 dst_sel:DWORD dst_unused:UNUSED_PAD src0_sel:WORD_1 src1_sel:DWORD
	v_fma_f16 v1, v40, v7, v1
	v_pack_b32_f16 v1, v1, v5
	ds_write_b32 v42, v1 offset:2772
	s_waitcnt vmcnt(7)
	v_lshrrev_b32_e32 v1, 16, v9
	s_waitcnt vmcnt(6)
	v_mul_f16_sdwa v3, v38, v9 dst_sel:DWORD dst_unused:UNUSED_PAD src0_sel:WORD_1 src1_sel:DWORD
	v_mul_f16_sdwa v5, v38, v1 dst_sel:DWORD dst_unused:UNUSED_PAD src0_sel:WORD_1 src1_sel:DWORD
	v_fma_f16 v1, v38, v1, -v3
	s_waitcnt vmcnt(5)
	v_lshrrev_b32_e32 v3, 16, v8
	s_waitcnt vmcnt(4)
	v_mul_f16_sdwa v6, v37, v8 dst_sel:DWORD dst_unused:UNUSED_PAD src0_sel:WORD_1 src1_sel:DWORD
	v_fma_f16 v5, v38, v9, v5
	v_mul_f16_sdwa v7, v37, v3 dst_sel:DWORD dst_unused:UNUSED_PAD src0_sel:WORD_1 src1_sel:DWORD
	v_fma_f16 v3, v37, v3, -v6
	v_pack_b32_f16 v1, v5, v1
	v_fma_f16 v5, v37, v8, v7
	ds_write2_b32 v42, v0, v1 offset1:231
	v_pack_b32_f16 v0, v5, v3
	s_waitcnt vmcnt(3)
	v_lshrrev_b32_e32 v1, 16, v10
	s_waitcnt vmcnt(2)
	v_mul_f16_sdwa v3, v36, v10 dst_sel:DWORD dst_unused:UNUSED_PAD src0_sel:WORD_1 src1_sel:DWORD
	v_mul_f16_sdwa v5, v36, v1 dst_sel:DWORD dst_unused:UNUSED_PAD src0_sel:WORD_1 src1_sel:DWORD
	v_fma_f16 v1, v36, v1, -v3
	s_waitcnt vmcnt(1)
	v_lshrrev_b32_e32 v3, 16, v2
	s_waitcnt vmcnt(0)
	v_mul_f16_sdwa v6, v35, v2 dst_sel:DWORD dst_unused:UNUSED_PAD src0_sel:WORD_1 src1_sel:DWORD
	v_fma_f16 v5, v36, v10, v5
	v_mul_f16_sdwa v7, v35, v3 dst_sel:DWORD dst_unused:UNUSED_PAD src0_sel:WORD_1 src1_sel:DWORD
	v_fma_f16 v3, v35, v3, -v6
	v_pack_b32_f16 v1, v5, v1
	v_fma_f16 v2, v35, v2, v7
	ds_write_b32 v42, v1 offset:1848
	v_pack_b32_f16 v1, v2, v3
	v_add_u32_e32 v2, 0x700, v42
	ds_write2_b32 v4, v0, v1 offset0:12 offset1:243
	s_waitcnt lgkmcnt(0)
	s_barrier
	ds_read2_b32 v[0:1], v42 offset1:231
	ds_read2_b32 v[2:3], v2 offset0:14 offset1:245
	ds_read2_b32 v[7:8], v4 offset0:12 offset1:243
	v_add_co_u32_e32 v10, vcc, s0, v39
	s_movk_i32 s0, 0xc6
	s_waitcnt lgkmcnt(1)
	v_pk_add_f16 v5, v0, v3 neg_lo:[0,1] neg_hi:[0,1]
	s_waitcnt lgkmcnt(0)
	v_pk_add_f16 v7, v1, v7 neg_lo:[0,1] neg_hi:[0,1]
	v_pk_add_f16 v9, v2, v8 neg_lo:[0,1] neg_hi:[0,1]
	v_pk_fma_f16 v4, v0, 2.0, v5 op_sel_hi:[1,0,1] neg_lo:[0,0,1] neg_hi:[0,0,1]
	v_pk_fma_f16 v6, v1, 2.0, v7 op_sel_hi:[1,0,1] neg_lo:[0,0,1] neg_hi:[0,0,1]
	;; [unrolled: 1-line block ×3, first 2 shown]
	v_lshrrev_b32_e32 v11, 16, v4
	v_lshlrev_b32_e32 v47, 3, v10
	v_cmp_gt_u16_e32 vcc, s0, v39
	v_lshrrev_b32_e32 v17, 16, v6
	v_lshrrev_b32_e32 v16, 16, v8
	s_barrier
	ds_write_b64 v46, v[4:5]
	ds_write_b64 v47, v[6:7]
	ds_write_b64 v46, v[8:9] offset:3696
	s_waitcnt lgkmcnt(0)
	s_barrier
	s_and_saveexec_b64 s[0:1], vcc
	s_cbranch_execz .LBB0_3
; %bb.2:
	v_add_u32_e32 v0, 0x600, v42
	ds_read2_b32 v[6:7], v0 offset0:12 offset1:210
	v_add_u32_e32 v0, 0xc00, v42
	ds_read2_b32 v[4:5], v42 offset1:198
	ds_read2_b32 v[8:9], v0 offset0:24 offset1:222
	ds_read_b32 v15, v42 offset:4752
	s_waitcnt lgkmcnt(3)
	v_lshrrev_b32_e32 v17, 16, v6
	s_waitcnt lgkmcnt(2)
	v_lshrrev_b32_e32 v11, 16, v4
	s_waitcnt lgkmcnt(1)
	v_lshrrev_b32_e32 v16, 16, v8
	s_waitcnt lgkmcnt(0)
	v_lshrrev_b32_e32 v18, 16, v15
.LBB0_3:
	s_or_b64 exec, exec, s[0:1]
	v_and_b32_e32 v45, 1, v39
	v_mul_u32_u24_e32 v0, 6, v45
	v_lshlrev_b32_e32 v19, 2, v0
	global_load_dwordx4 v[0:3], v19, s[14:15]
	global_load_dwordx2 v[13:14], v19, s[14:15] offset:16
	v_lshrrev_b32_e32 v19, 16, v7
	v_lshrrev_b32_e32 v20, 16, v9
	;; [unrolled: 1-line block ×3, first 2 shown]
	s_movk_i32 s0, 0x2b26
	s_mov_b32 s2, 0xb846
	s_mov_b32 s3, 0xbcab
	s_movk_i32 s1, 0x370e
	v_lshrrev_b32_e32 v48, 1, v39
	s_waitcnt vmcnt(0)
	s_barrier
	v_mul_f16_sdwa v22, v17, v1 dst_sel:DWORD dst_unused:UNUSED_PAD src0_sel:DWORD src1_sel:WORD_1
	v_mul_f16_sdwa v23, v19, v2 dst_sel:DWORD dst_unused:UNUSED_PAD src0_sel:DWORD src1_sel:WORD_1
	;; [unrolled: 1-line block ×12, first 2 shown]
	v_fma_f16 v22, v6, v1, -v22
	v_fma_f16 v23, v7, v2, -v23
	;; [unrolled: 1-line block ×4, first 2 shown]
	v_fma_f16 v9, v17, v1, v24
	v_fma_f16 v20, v20, v13, v29
	v_fma_f16 v6, v15, v14, -v30
	v_fma_f16 v7, v18, v14, v31
	v_fma_f16 v17, v21, v0, v32
	v_fma_f16 v15, v5, v0, -v33
	v_fma_f16 v19, v19, v2, v25
	v_fma_f16 v24, v16, v3, v28
	v_add_f16_e32 v5, v15, v6
	v_sub_f16_e32 v16, v15, v6
	v_add_f16_e32 v15, v17, v7
	v_sub_f16_e32 v6, v17, v7
	v_add_f16_e32 v7, v22, v8
	v_add_f16_e32 v17, v9, v20
	v_sub_f16_e32 v18, v22, v8
	v_sub_f16_e32 v8, v9, v20
	v_add_f16_e32 v9, v23, v26
	v_sub_f16_e32 v20, v26, v23
	v_add_f16_e32 v21, v19, v24
	v_sub_f16_e32 v19, v24, v19
	v_add_f16_e32 v22, v7, v5
	v_add_f16_e32 v24, v17, v15
	v_sub_f16_e32 v23, v5, v9
	v_sub_f16_e32 v25, v15, v21
	;; [unrolled: 1-line block ×3, first 2 shown]
	v_add_f16_e32 v27, v20, v18
	v_sub_f16_e32 v28, v20, v18
	v_sub_f16_e32 v20, v16, v20
	v_add_f16_e32 v30, v19, v8
	v_sub_f16_e32 v31, v19, v8
	v_sub_f16_e32 v19, v6, v19
	v_add_f16_e32 v22, v9, v22
	v_add_f16_e32 v21, v21, v24
	v_sub_f16_e32 v26, v9, v7
	v_add_f16_e32 v34, v30, v6
	v_mul_f16_e32 v24, 0x3a52, v23
	v_mul_f16_e32 v30, 0x3a52, v25
	;; [unrolled: 1-line block ×4, first 2 shown]
	v_add_f16_e32 v4, v4, v22
	v_add_f16_e32 v9, v11, v21
	;; [unrolled: 1-line block ×3, first 2 shown]
	v_fma_f16 v11, v28, s2, v32
	v_fma_f16 v19, v31, s2, v25
	;; [unrolled: 1-line block ×8, first 2 shown]
	v_add_f16_e32 v20, v20, v22
	v_add_f16_e32 v21, v23, v27
	v_add_f16_e32 v51, v11, v21
	v_sub_f16_e32 v23, v20, v19
	s_and_saveexec_b64 s[0:1], vcc
	s_cbranch_execz .LBB0_5
; %bb.4:
	v_sub_f16_e32 v16, v18, v16
	s_mov_b32 s2, 0xbb00
	v_sub_f16_e32 v15, v17, v15
	s_mov_b32 s3, 0xb9e0
	v_sub_f16_e32 v5, v7, v5
	v_sub_f16_e32 v6, v8, v6
	v_mul_f16_e32 v29, 0x2b26, v29
	v_mul_f16_e32 v28, 0xb846, v28
	v_fma_f16 v18, v16, s2, -v32
	v_fma_f16 v17, v15, s3, -v30
	;; [unrolled: 1-line block ×4, first 2 shown]
	s_movk_i32 s2, 0x39e0
	s_movk_i32 s3, 0x3b00
	v_mul_f16_e32 v33, 0x370e, v33
	v_fma_f16 v15, v15, s2, -v29
	v_fma_f16 v16, v16, s3, -v28
	v_mul_f16_e32 v26, 0x2b26, v26
	v_mul_f16_e32 v34, 0x370e, v34
	;; [unrolled: 1-line block ×3, first 2 shown]
	v_add_f16_e32 v15, v15, v27
	v_add_f16_e32 v16, v33, v16
	;; [unrolled: 1-line block ×4, first 2 shown]
	v_sub_f16_e32 v25, v15, v16
	v_fma_f16 v6, v6, s3, -v31
	v_fma_f16 v5, v5, s2, -v26
	v_add_f16_e32 v15, v16, v15
	v_mul_u32_u24_e32 v16, 14, v48
	v_add_f16_e32 v18, v33, v18
	v_add_f16_e32 v17, v17, v27
	v_sub_f16_e32 v24, v7, v8
	v_add_f16_e32 v6, v34, v6
	v_add_f16_e32 v5, v5, v22
	;; [unrolled: 1-line block ×3, first 2 shown]
	v_sub_f16_e32 v8, v21, v11
	v_add_f16_e32 v11, v19, v20
	v_or_b32_e32 v16, v16, v45
	s_mov_b32 s2, 0x5040100
	v_add_f16_e32 v22, v6, v5
	v_sub_f16_e32 v5, v5, v6
	v_sub_f16_e32 v6, v17, v18
	v_lshlrev_b32_e32 v16, 2, v16
	v_perm_b32 v4, v9, v4, s2
	v_pack_b32_f16 v8, v11, v8
	v_add_f16_e32 v30, v18, v17
	ds_write2_b32 v16, v4, v8 offset1:2
	v_pack_b32_f16 v4, v7, v6
	v_pack_b32_f16 v5, v5, v15
	ds_write2_b32 v16, v4, v5 offset0:4 offset1:6
	v_pack_b32_f16 v4, v22, v25
	v_pack_b32_f16 v5, v24, v30
	ds_write2_b32 v16, v4, v5 offset0:8 offset1:10
	v_perm_b32 v4, v51, v23, s2
	ds_write_b32 v16, v4 offset:48
.LBB0_5:
	s_or_b64 exec, exec, s[0:1]
	v_lshrrev_b16_e32 v4, 1, v39
	v_and_b32_e32 v4, 0x7f, v4
	v_mul_lo_u16_e32 v5, 0x93, v4
	v_lshrrev_b16_e32 v11, 10, v5
	v_mul_lo_u16_e32 v5, 14, v11
	v_sub_u16_e32 v5, v39, v5
	v_and_b32_e32 v19, 0xff, v5
	v_lshlrev_b32_e32 v5, 3, v19
	s_waitcnt lgkmcnt(0)
	s_barrier
	global_load_dwordx2 v[15:16], v5, s[14:15] offset:48
	v_lshrrev_b16_e32 v5, 1, v10
	v_mul_u32_u24_e32 v5, 0x4925, v5
	v_lshrrev_b32_e32 v20, 17, v5
	v_mul_lo_u16_e32 v5, 14, v20
	v_sub_u16_e32 v21, v10, v5
	v_lshlrev_b16_e32 v5, 3, v21
	v_mov_b32_e32 v6, s15
	v_add_co_u32_e64 v5, s[0:1], s14, v5
	v_addc_co_u32_e64 v6, s[0:1], 0, v6, s[0:1]
	global_load_dwordx2 v[17:18], v[5:6], off offset:48
	v_add_u32_e32 v7, 0x700, v42
	v_add_u32_e32 v9, 0xe40, v42
	ds_read2_b32 v[5:6], v42 offset1:231
	ds_read2_b32 v[7:8], v7 offset0:14 offset1:245
	ds_read2_b32 v[9:10], v9 offset0:12 offset1:243
	v_mul_u32_u24_e32 v11, 42, v11
	v_mad_legacy_u16 v20, v20, 42, v21
	v_lshlrev_b32_e32 v49, 2, v20
	s_waitcnt lgkmcnt(1)
	v_lshrrev_b32_e32 v21, 16, v7
	s_waitcnt lgkmcnt(0)
	v_lshrrev_b32_e32 v25, 16, v9
	v_lshrrev_b32_e32 v26, 16, v8
	v_lshrrev_b32_e32 v27, 16, v10
	v_add_lshl_u32 v50, v11, v19, 2
	v_lshrrev_b32_e32 v22, 16, v5
	v_lshrrev_b32_e32 v24, 16, v6
	s_movk_i32 s0, 0x3aee
	s_mov_b32 s1, 0xbaee
	s_waitcnt vmcnt(0)
	s_barrier
	v_lshlrev_b32_e32 v31, 1, v39
                                        ; implicit-def: $vgpr56
                                        ; implicit-def: $vgpr57
                                        ; implicit-def: $vgpr61
                                        ; implicit-def: $vgpr55
                                        ; implicit-def: $vgpr71
	v_mul_f16_sdwa v11, v21, v15 dst_sel:DWORD dst_unused:UNUSED_PAD src0_sel:DWORD src1_sel:WORD_1
	v_mul_f16_sdwa v19, v7, v15 dst_sel:DWORD dst_unused:UNUSED_PAD src0_sel:DWORD src1_sel:WORD_1
	;; [unrolled: 1-line block ×4, first 2 shown]
	v_fma_f16 v7, v7, v15, -v11
	v_fma_f16 v11, v21, v15, v19
	v_fma_f16 v9, v9, v16, -v20
	v_fma_f16 v19, v25, v16, v28
	v_add_f16_e32 v21, v5, v7
	v_add_f16_e32 v28, v22, v11
	v_add_f16_e32 v21, v21, v9
	v_mul_f16_sdwa v29, v26, v17 dst_sel:DWORD dst_unused:UNUSED_PAD src0_sel:DWORD src1_sel:WORD_1
	v_mul_f16_sdwa v30, v8, v17 dst_sel:DWORD dst_unused:UNUSED_PAD src0_sel:DWORD src1_sel:WORD_1
	;; [unrolled: 1-line block ×4, first 2 shown]
	v_fma_f16 v8, v8, v17, -v29
	v_fma_f16 v20, v26, v17, v30
	v_fma_f16 v10, v10, v18, -v32
	v_fma_f16 v25, v27, v18, v33
	v_add_f16_e32 v26, v7, v9
	v_sub_f16_e32 v27, v11, v19
	v_add_f16_e32 v11, v11, v19
	v_sub_f16_e32 v7, v7, v9
	v_add_f16_e32 v29, v6, v8
	v_add_f16_e32 v30, v8, v10
	v_sub_f16_e32 v43, v20, v25
	v_add_f16_e32 v33, v24, v20
	v_add_f16_e32 v20, v20, v25
	v_fma_f16 v5, v26, -0.5, v5
	v_fma_f16 v9, v11, -0.5, v22
	v_sub_f16_e32 v8, v8, v10
	v_add_f16_e32 v32, v28, v19
	v_add_f16_e32 v26, v29, v10
	v_fma_f16 v6, v30, -0.5, v6
	v_fma_f16 v10, v20, -0.5, v24
	v_fma_f16 v22, v27, s0, v5
	v_fma_f16 v52, v7, s1, v9
	v_add_f16_e32 v34, v33, v25
	v_fma_f16 v25, v27, s1, v5
	v_fma_f16 v33, v7, s0, v9
	;; [unrolled: 1-line block ×4, first 2 shown]
	v_pack_b32_f16 v5, v21, v32
	v_pack_b32_f16 v7, v22, v52
	v_fma_f16 v28, v43, s1, v6
	v_fma_f16 v54, v8, s0, v10
	v_pack_b32_f16 v6, v26, v34
	v_pack_b32_f16 v8, v25, v33
	ds_write2_b32 v50, v5, v7 offset1:14
	ds_write_b32 v50, v8 offset:112
	v_pack_b32_f16 v5, v27, v53
	s_movk_i32 s0, 0x7e
	ds_write2_b32 v49, v6, v5 offset1:14
	v_pack_b32_f16 v5, v28, v54
	v_cmp_gt_u16_e64 s[0:1], s0, v39
	ds_write_b32 v49, v5 offset:112
	s_waitcnt lgkmcnt(0)
	s_barrier
	s_waitcnt lgkmcnt(0)
                                        ; implicit-def: $vgpr29
	s_and_saveexec_b64 s[2:3], s[0:1]
	s_cbranch_execz .LBB0_7
; %bb.6:
	v_add_u32_e32 v5, 0x200, v42
	ds_read2_b32 v[25:26], v5 offset0:124 offset1:250
	v_add_u32_e32 v5, 0x600, v42
	ds_read2_b32 v[27:28], v5 offset0:120 offset1:246
	;; [unrolled: 2-line block ×3, first 2 shown]
	v_add_u32_e32 v5, 0xe00, v42
	ds_read2_b32 v[21:22], v42 offset1:126
	ds_read2_b32 v[29:30], v5 offset0:112 offset1:238
	ds_read_b32 v55, v42 offset:5040
	s_waitcnt lgkmcnt(5)
	v_lshrrev_b32_e32 v33, 16, v25
	v_lshrrev_b32_e32 v34, 16, v26
	s_waitcnt lgkmcnt(2)
	v_lshrrev_b32_e32 v32, 16, v21
	v_lshrrev_b32_e32 v52, 16, v22
	;; [unrolled: 1-line block ×6, first 2 shown]
	s_waitcnt lgkmcnt(1)
	v_lshrrev_b32_e32 v57, 16, v29
	v_lshrrev_b32_e32 v61, 16, v30
	s_waitcnt lgkmcnt(0)
	v_lshrrev_b32_e32 v71, 16, v55
.LBB0_7:
	s_or_b64 exec, exec, s[2:3]
	v_mul_lo_u16_e32 v4, 49, v4
	v_lshrrev_b16_e32 v43, 10, v4
	v_mul_lo_u16_e32 v4, 42, v43
	v_sub_u16_e32 v4, v39, v4
	v_and_b32_e32 v44, 0xff, v4
	v_mad_u64_u32 v[58:59], s[2:3], v44, 40, s[14:15]
	s_movk_i32 s2, 0x36a6
	s_mov_b32 s3, 0xb08e
	global_load_dwordx4 v[4:7], v[58:59], off offset:160
	global_load_dwordx4 v[8:11], v[58:59], off offset:176
	global_load_dwordx2 v[19:20], v[58:59], off offset:192
	s_mov_b32 s7, 0xb93d
	s_mov_b32 s16, 0xbbad
	s_movk_i32 s6, 0x3abb
	s_waitcnt vmcnt(0)
	s_barrier
	v_mul_f16_sdwa v58, v52, v4 dst_sel:DWORD dst_unused:UNUSED_PAD src0_sel:DWORD src1_sel:WORD_1
	v_mul_f16_sdwa v59, v22, v4 dst_sel:DWORD dst_unused:UNUSED_PAD src0_sel:DWORD src1_sel:WORD_1
	;; [unrolled: 1-line block ×11, first 2 shown]
	v_fma_f16 v60, v22, v4, -v58
	v_fma_f16 v22, v52, v4, v59
	v_fma_f16 v59, v54, v8, v69
	v_fma_f16 v69, v30, v19, -v77
	v_fma_f16 v30, v61, v19, v78
	v_fma_f16 v61, v71, v20, v80
	v_mul_f16_sdwa v62, v33, v5 dst_sel:DWORD dst_unused:UNUSED_PAD src0_sel:DWORD src1_sel:WORD_1
	v_mul_f16_sdwa v65, v26, v6 dst_sel:DWORD dst_unused:UNUSED_PAD src0_sel:DWORD src1_sel:WORD_1
	;; [unrolled: 1-line block ×8, first 2 shown]
	v_fma_f16 v33, v33, v5, v63
	v_fma_f16 v63, v26, v6, -v64
	v_fma_f16 v64, v27, v7, -v66
	;; [unrolled: 1-line block ×4, first 2 shown]
	v_sub_f16_e32 v27, v22, v61
	v_mul_f16_sdwa v74, v24, v10 dst_sel:DWORD dst_unused:UNUSED_PAD src0_sel:DWORD src1_sel:WORD_1
	v_fma_f16 v62, v25, v5, -v62
	v_fma_f16 v34, v34, v6, v65
	v_fma_f16 v58, v53, v7, v67
	v_fma_f16 v65, v28, v8, -v68
	v_fma_f16 v23, v51, v9, v72
	v_fma_f16 v67, v24, v10, -v73
	v_fma_f16 v68, v29, v11, -v75
	v_fma_f16 v29, v57, v11, v76
	v_add_f16_e32 v72, v60, v70
	v_sub_f16_e32 v28, v33, v30
	v_mul_f16_e32 v73, 0xbb47, v27
	v_fma_f16 v24, v56, v10, v74
	v_add_f16_e32 v71, v62, v69
	v_sub_f16_e32 v51, v34, v29
	v_mul_f16_e32 v79, 0xbbeb, v27
	v_mul_f16_e32 v74, 0xba0c, v28
	v_fma_f16 v25, v72, s2, v73
	v_add_f16_e32 v78, v63, v68
	v_sub_f16_e32 v52, v58, v24
	v_mul_f16_e32 v80, 0x3482, v28
	v_mul_f16_e32 v75, 0x3482, v51
	v_fma_f16 v26, v72, s3, v79
	v_fma_f16 v53, v71, s7, v74
	v_add_f16_e32 v25, v21, v25
	v_add_f16_e32 v86, v64, v67
	v_mul_f16_e32 v81, 0x3b47, v51
	v_mul_f16_e32 v76, 0x3beb, v52
	v_fma_f16 v54, v71, s16, v80
	v_fma_f16 v55, v78, s16, v75
	v_add_f16_e32 v26, v21, v26
	v_add_f16_e32 v25, v53, v25
	v_sub_f16_e32 v57, v59, v23
	v_mul_f16_e32 v82, 0xb853, v52
	v_fma_f16 v56, v78, s2, v81
	v_fma_f16 v87, v86, s3, v76
	v_add_f16_e32 v26, v54, v26
	v_add_f16_e32 v25, v55, v25
	v_sub_f16_e32 v54, v60, v70
	v_add_f16_e32 v89, v65, v66
	v_mul_f16_e32 v77, 0x3853, v57
	v_fma_f16 v88, v86, s6, v82
	v_add_f16_e32 v26, v56, v26
	v_add_f16_e32 v25, v87, v25
	;; [unrolled: 1-line block ×3, first 2 shown]
	v_mul_f16_e32 v87, 0xb853, v54
	v_sub_f16_e32 v56, v62, v69
	v_fma_f16 v90, v89, s6, v77
	v_add_f16_e32 v53, v88, v26
	v_fma_f16 v55, v116, s6, -v87
	v_add_f16_e32 v110, v33, v30
	v_mul_f16_e32 v88, 0xbb47, v56
	v_mul_f16_e32 v85, 0xba0c, v57
	;; [unrolled: 1-line block ×3, first 2 shown]
	v_add_f16_e32 v26, v90, v25
	v_add_f16_e32 v55, v32, v55
	v_fma_f16 v90, v110, s2, -v88
	v_mul_f16_e32 v84, 0xbb47, v28
	v_fma_f16 v91, v89, s7, v85
	v_fma_f16 v92, v72, s6, v83
	v_add_f16_e32 v55, v90, v55
	v_mul_f16_e32 v90, 0xbb47, v54
	v_add_f16_e32 v92, v21, v92
	v_add_f16_e32 v25, v91, v53
	v_fma_f16 v53, v71, s2, v84
	v_fma_f16 v91, v116, s2, -v90
	v_add_f16_e32 v53, v53, v92
	v_add_f16_e32 v92, v32, v91
	v_mul_f16_e32 v91, 0xba0c, v56
	v_fma_f16 v93, v110, s7, -v91
	v_mul_f16_e32 v94, 0xbbeb, v54
	v_add_f16_e32 v95, v93, v92
	v_fma_f16 v92, v116, s3, -v94
	v_mul_f16_e32 v96, 0x3482, v56
	v_add_f16_e32 v92, v32, v92
	;; [unrolled: 3-line block ×3, first 2 shown]
	v_fma_f16 v92, v72, s7, v99
	v_mul_f16_e32 v100, 0x3beb, v28
	v_mul_f16_e32 v107, 0xb482, v27
	v_add_f16_e32 v92, v21, v92
	v_fma_f16 v93, v71, s3, v100
	v_mul_f16_e32 v102, 0xba0c, v54
	v_fma_f16 v27, v72, s16, v107
	v_mul_f16_e32 v108, 0x3853, v28
	v_add_f16_e32 v101, v93, v92
	v_fma_f16 v92, v116, s7, -v102
	v_mul_f16_e32 v103, 0x3beb, v56
	v_add_f16_e32 v27, v21, v27
	v_fma_f16 v28, v71, s6, v108
	v_mul_f16_e32 v114, 0xb482, v54
	v_add_f16_e32 v92, v32, v92
	v_fma_f16 v93, v110, s3, -v103
	v_add_f16_e32 v27, v28, v27
	v_fma_f16 v28, v116, s16, -v114
	v_mul_f16_e32 v115, 0x3853, v56
	v_add_f16_e32 v105, v93, v92
	v_add_f16_e32 v28, v32, v28
	v_fma_f16 v54, v110, s6, -v115
	v_mul_f16_e32 v92, 0xbbeb, v51
	v_add_f16_e32 v28, v54, v28
	v_fma_f16 v54, v78, s3, v92
	v_add_f16_e32 v53, v54, v53
	v_sub_f16_e32 v54, v63, v68
	v_add_f16_e32 v122, v34, v29
	v_mul_f16_e32 v93, 0xbbeb, v54
	v_fma_f16 v56, v122, s3, -v93
	v_mul_f16_e32 v97, 0x3482, v54
	v_add_f16_e32 v55, v56, v55
	v_fma_f16 v56, v122, s16, -v97
	v_mul_f16_e32 v104, 0x3b47, v54
	v_add_f16_e32 v56, v56, v95
	;; [unrolled: 3-line block ×3, first 2 shown]
	v_fma_f16 v95, v78, s6, v109
	v_mul_f16_e32 v113, 0xb853, v54
	v_mul_f16_e32 v118, 0xba0c, v51
	v_add_f16_e32 v101, v95, v101
	v_fma_f16 v95, v122, s6, -v113
	v_fma_f16 v51, v78, s7, v118
	v_mul_f16_e32 v121, 0xba0c, v54
	v_add_f16_e32 v112, v95, v105
	v_add_f16_e32 v27, v51, v27
	v_fma_f16 v51, v122, s7, -v121
	v_mul_f16_e32 v95, 0xba0c, v52
	v_add_f16_e32 v28, v51, v28
	v_fma_f16 v51, v86, s7, v95
	v_add_f16_e32 v51, v51, v53
	v_sub_f16_e32 v53, v64, v67
	v_add_f16_e32 v125, v58, v24
	v_mul_f16_e32 v98, 0xba0c, v53
	v_fma_f16 v54, v125, s7, -v98
	v_mul_f16_e32 v105, 0x3beb, v53
	v_add_f16_e32 v55, v54, v55
	v_fma_f16 v54, v125, s3, -v105
	v_mul_f16_e32 v111, 0xb853, v53
	v_add_f16_e32 v56, v54, v56
	v_fma_f16 v54, v125, s6, -v111
	v_mul_f16_e32 v117, 0xb482, v52
	v_mul_f16_e32 v123, 0x3b47, v52
	v_add_f16_e32 v124, v54, v106
	v_fma_f16 v54, v86, s16, v117
	v_fma_f16 v52, v86, s2, v123
	v_mul_f16_e32 v127, 0x3b47, v53
	v_add_f16_e32 v131, v54, v101
	v_mul_f16_e32 v120, 0xb482, v53
	v_add_f16_e32 v27, v52, v27
	v_fma_f16 v52, v125, s2, -v127
	v_mul_f16_e32 v101, 0xb482, v57
	v_sub_f16_e32 v130, v65, v66
	v_fma_f16 v54, v125, s16, -v120
	v_add_f16_e32 v28, v52, v28
	v_fma_f16 v52, v89, s16, v101
	v_add_f16_e32 v129, v59, v23
	v_mul_f16_e32 v106, 0xb482, v130
	v_add_f16_e32 v126, v54, v112
	v_add_f16_e32 v54, v52, v51
	v_fma_f16 v51, v129, s16, -v106
	v_mul_f16_e32 v112, 0x3853, v130
	v_add_f16_e32 v55, v51, v55
	v_fma_f16 v51, v129, s6, -v112
	v_mul_f16_e32 v119, 0xba0c, v130
	v_add_f16_e32 v53, v51, v56
	v_fma_f16 v51, v129, s7, -v119
	v_add_f16_e32 v52, v51, v124
	v_mul_f16_e32 v124, 0x3b47, v130
	v_mul_f16_e32 v128, 0xbbeb, v57
	v_fma_f16 v51, v129, s2, -v124
	v_fma_f16 v56, v89, s3, v128
	v_mul_f16_e32 v130, 0xbbeb, v130
	v_add_f16_e32 v51, v51, v126
	v_add_f16_e32 v27, v56, v27
	v_fma_f16 v56, v129, s3, -v130
	v_mul_f16_e32 v126, 0x3b47, v57
	v_add_f16_e32 v56, v56, v28
	v_fma_f16 v28, v89, s2, v126
	v_add_f16_e32 v28, v28, v131
	v_add_u32_e32 v57, 0xe70, v46
	s_and_saveexec_b64 s[2:3], s[0:1]
	s_cbranch_execz .LBB0_9
; %bb.8:
	v_mul_f16_e32 v131, 0x3abb, v72
	v_mul_f16_e32 v133, 0x36a6, v72
	;; [unrolled: 1-line block ×10, first 2 shown]
	v_sub_f16_e32 v72, v72, v107
	v_sub_f16_e32 v73, v133, v73
	v_mul_f16_e32 v147, 0xb08e, v78
	v_mul_f16_e32 v149, 0xbbad, v78
	v_mul_f16_e32 v151, 0x36a6, v78
	v_mul_f16_e32 v153, 0x3abb, v78
	v_mul_f16_e32 v78, 0xb93d, v78
	v_add_f16_e32 v72, v21, v72
	v_sub_f16_e32 v71, v71, v108
	v_add_f16_e32 v73, v21, v73
	v_sub_f16_e32 v74, v141, v74
	v_mul_f16_e32 v155, 0xb93d, v86
	v_mul_f16_e32 v157, 0xb08e, v86
	v_mul_f16_e32 v159, 0x3abb, v86
	v_mul_f16_e32 v161, 0xbbad, v86
	v_mul_f16_e32 v86, 0x36a6, v86
	v_add_f16_e32 v71, v71, v72
	v_sub_f16_e32 v72, v78, v118
	v_add_f16_e32 v73, v74, v73
	;; [unrolled: 9-line block ×3, first 2 shown]
	v_sub_f16_e32 v74, v157, v76
	v_mul_f16_e32 v132, 0x3abb, v116
	v_mul_f16_e32 v138, 0xb93d, v116
	v_add_f16_e32 v71, v72, v71
	v_sub_f16_e32 v72, v89, v128
	v_add_f16_e32 v73, v74, v73
	v_sub_f16_e32 v74, v165, v77
	v_mul_f16_e32 v140, 0x36a6, v110
	v_mul_f16_e32 v146, 0xb08e, v110
	v_add_f16_e32 v71, v72, v71
	v_add_f16_e32 v72, v102, v138
	v_add_f16_e32 v73, v74, v73
	v_add_f16_e32 v74, v87, v132
	v_mul_f16_e32 v148, 0xb08e, v122
	v_mul_f16_e32 v154, 0x3abb, v122
	v_add_f16_e32 v72, v32, v72
	v_add_f16_e32 v78, v103, v146
	v_add_f16_e32 v74, v32, v74
	v_add_f16_e32 v75, v88, v140
	;; [unrolled: 6-line block ×4, first 2 shown]
	v_add_f16_e32 v72, v78, v72
	v_add_f16_e32 v78, v124, v170
	;; [unrolled: 1-line block ×5, first 2 shown]
	v_sub_f16_e32 v78, v137, v99
	v_sub_f16_e32 v79, v135, v79
	v_add_f16_e32 v74, v75, v74
	v_sub_f16_e32 v75, v131, v83
	v_add_f16_e32 v78, v21, v78
	v_add_f16_e32 v79, v21, v79
	;; [unrolled: 1-line block ×5, first 2 shown]
	v_sub_f16_e32 v86, v145, v100
	v_sub_f16_e32 v80, v143, v80
	v_add_f16_e32 v21, v21, v62
	v_add_f16_e32 v22, v22, v33
	;; [unrolled: 1-line block ×3, first 2 shown]
	v_sub_f16_e32 v86, v153, v109
	v_add_f16_e32 v79, v80, v79
	v_sub_f16_e32 v80, v151, v81
	v_add_f16_e32 v21, v21, v63
	v_add_f16_e32 v22, v22, v34
	;; [unrolled: 1-line block ×3, first 2 shown]
	v_sub_f16_e32 v86, v161, v117
	v_add_f16_e32 v79, v80, v79
	v_sub_f16_e32 v80, v159, v82
	v_add_f16_e32 v21, v21, v64
	v_add_f16_e32 v22, v22, v58
	v_mul_f16_e32 v134, 0x36a6, v116
	v_mul_f16_e32 v136, 0xb08e, v116
	v_add_f16_e32 v78, v86, v78
	v_sub_f16_e32 v86, v169, v126
	v_add_f16_e32 v79, v80, v79
	v_sub_f16_e32 v80, v167, v85
	v_add_f16_e32 v21, v21, v65
	v_add_f16_e32 v22, v22, v59
	v_mul_f16_e32 v116, 0xbbad, v116
	v_mul_f16_e32 v142, 0xb93d, v110
	;; [unrolled: 1-line block ×3, first 2 shown]
	v_add_f16_e32 v78, v86, v78
	v_add_f16_e32 v86, v94, v136
	;; [unrolled: 1-line block ×4, first 2 shown]
	v_sub_f16_e32 v76, v139, v84
	v_add_f16_e32 v21, v21, v66
	v_add_f16_e32 v22, v22, v23
	v_mul_f16_e32 v110, 0x3abb, v110
	v_mul_f16_e32 v150, 0xbbad, v122
	;; [unrolled: 1-line block ×3, first 2 shown]
	v_add_f16_e32 v114, v114, v116
	v_add_f16_e32 v86, v32, v86
	;; [unrolled: 1-line block ×6, first 2 shown]
	v_sub_f16_e32 v76, v147, v92
	v_add_f16_e32 v21, v21, v67
	v_add_f16_e32 v22, v22, v24
	v_mul_f16_e32 v122, 0xb93d, v122
	v_mul_f16_e32 v158, 0xb08e, v125
	;; [unrolled: 1-line block ×3, first 2 shown]
	v_add_f16_e32 v114, v32, v114
	v_add_f16_e32 v110, v115, v110
	;; [unrolled: 1-line block ×7, first 2 shown]
	v_sub_f16_e32 v76, v155, v95
	v_add_f16_e32 v21, v21, v68
	v_add_f16_e32 v22, v22, v29
	v_mul_f16_e32 v125, 0x36a6, v125
	v_mul_f16_e32 v166, 0x3abb, v129
	;; [unrolled: 1-line block ×3, first 2 shown]
	v_add_f16_e32 v110, v110, v114
	v_add_f16_e32 v114, v121, v122
	;; [unrolled: 1-line block ×7, first 2 shown]
	v_sub_f16_e32 v76, v163, v101
	v_add_f16_e32 v21, v21, v69
	v_add_f16_e32 v22, v22, v30
	v_mul_f16_e32 v129, 0xb08e, v129
	v_add_f16_e32 v110, v114, v110
	v_add_f16_e32 v114, v127, v125
	;; [unrolled: 1-line block ×9, first 2 shown]
	v_mul_u32_u24_e32 v23, 0x1ce, v43
	v_add_f16_e32 v110, v114, v110
	v_add_f16_e32 v114, v130, v129
	;; [unrolled: 1-line block ×4, first 2 shown]
	v_add_lshl_u32 v23, v23, v44, 2
	v_pack_b32_f16 v21, v21, v22
	v_pack_b32_f16 v22, v75, v74
	v_add_f16_e32 v110, v114, v110
	ds_write2_b32 v23, v21, v22 offset1:42
	v_pack_b32_f16 v21, v73, v80
	v_pack_b32_f16 v22, v79, v86
	ds_write2_b32 v23, v21, v22 offset0:84 offset1:126
	v_pack_b32_f16 v21, v78, v72
	v_pack_b32_f16 v22, v71, v110
	s_mov_b32 s6, 0x5040100
	ds_write2_b32 v23, v21, v22 offset0:168 offset1:210
	v_perm_b32 v21, v56, v27, s6
	v_perm_b32 v22, v51, v28, s6
	v_add_u32_e32 v24, 0x200, v23
	ds_write2_b32 v24, v21, v22 offset0:124 offset1:166
	v_perm_b32 v21, v52, v25, s6
	v_perm_b32 v22, v53, v26, s6
	v_add_u32_e32 v24, 0x400, v23
	ds_write2_b32 v24, v21, v22 offset0:80 offset1:122
	v_perm_b32 v21, v55, v54, s6
	ds_write_b32 v23, v21 offset:1680
.LBB0_9:
	s_or_b64 exec, exec, s[2:3]
	v_lshlrev_b32_e32 v29, 2, v31
	s_waitcnt lgkmcnt(0)
	s_barrier
	global_load_dwordx2 v[21:22], v29, s[14:15] offset:1840
	global_load_dwordx2 v[23:24], v47, s[14:15] offset:1840
	v_add_u32_e32 v60, 0x700, v42
	ds_read2_b32 v[29:30], v42 offset1:231
	v_add_u32_e32 v61, 0xe40, v42
	ds_read2_b32 v[31:32], v60 offset0:14 offset1:245
	ds_read2_b32 v[33:34], v61 offset0:12 offset1:243
	v_lshlrev_b32_e32 v58, 2, v39
	s_movk_i32 s6, 0x3aee
	s_waitcnt lgkmcnt(2)
	v_lshrrev_b32_e32 v62, 16, v29
	s_waitcnt lgkmcnt(1)
	v_lshrrev_b32_e32 v64, 16, v31
	;; [unrolled: 2-line block ×3, first 2 shown]
	v_lshrrev_b32_e32 v66, 16, v32
	v_lshrrev_b32_e32 v67, 16, v34
	;; [unrolled: 1-line block ×3, first 2 shown]
	s_mov_b32 s7, 0xbaee
	v_mov_b32_e32 v59, s13
	v_add_co_u32_e64 v58, s[2:3], s12, v58
	s_movk_i32 s14, 0x1000
	v_addc_co_u32_e64 v59, s[2:3], 0, v59, s[2:3]
	s_movk_i32 s13, 0x15a8
	s_waitcnt vmcnt(1)
	v_mul_f16_sdwa v68, v64, v21 dst_sel:DWORD dst_unused:UNUSED_PAD src0_sel:DWORD src1_sel:WORD_1
	v_mul_f16_sdwa v69, v31, v21 dst_sel:DWORD dst_unused:UNUSED_PAD src0_sel:DWORD src1_sel:WORD_1
	;; [unrolled: 1-line block ×4, first 2 shown]
	s_waitcnt vmcnt(0)
	v_mul_f16_sdwa v72, v66, v23 dst_sel:DWORD dst_unused:UNUSED_PAD src0_sel:DWORD src1_sel:WORD_1
	v_mul_f16_sdwa v73, v32, v23 dst_sel:DWORD dst_unused:UNUSED_PAD src0_sel:DWORD src1_sel:WORD_1
	;; [unrolled: 1-line block ×4, first 2 shown]
	v_fma_f16 v31, v31, v21, -v68
	v_fma_f16 v64, v64, v21, v69
	v_fma_f16 v33, v33, v22, -v70
	v_fma_f16 v65, v65, v22, v71
	v_fma_f16 v32, v32, v23, -v72
	v_fma_f16 v66, v66, v23, v73
	v_fma_f16 v34, v34, v24, -v74
	v_fma_f16 v67, v67, v24, v75
	v_add_f16_e32 v69, v31, v33
	v_sub_f16_e32 v70, v64, v65
	v_add_f16_e32 v71, v62, v64
	v_add_f16_e32 v64, v64, v65
	;; [unrolled: 1-line block ×3, first 2 shown]
	v_sub_f16_e32 v31, v31, v33
	v_add_f16_e32 v73, v32, v34
	v_sub_f16_e32 v74, v66, v67
	v_add_f16_e32 v75, v63, v66
	v_add_f16_e32 v66, v66, v67
	v_fma_f16 v29, v69, -0.5, v29
	v_fma_f16 v62, v64, -0.5, v62
	v_add_f16_e32 v72, v30, v32
	v_sub_f16_e32 v32, v32, v34
	v_fma_f16 v30, v73, -0.5, v30
	v_add_f16_e32 v64, v75, v67
	v_fma_f16 v63, v66, -0.5, v63
	v_fma_f16 v66, v70, s6, v29
	v_fma_f16 v29, v70, s7, v29
	;; [unrolled: 1-line block ×4, first 2 shown]
	v_add_f16_e32 v33, v68, v33
	v_add_f16_e32 v65, v71, v65
	;; [unrolled: 1-line block ×3, first 2 shown]
	v_fma_f16 v62, v74, s6, v30
	v_fma_f16 v30, v74, s7, v30
	v_fma_f16 v68, v32, s7, v63
	v_fma_f16 v32, v32, s6, v63
	v_pack_b32_f16 v63, v66, v67
	v_pack_b32_f16 v29, v29, v31
	;; [unrolled: 1-line block ×6, first 2 shown]
	ds_write_b32 v42, v63 offset:1848
	ds_write_b32 v42, v29 offset:3696
	ds_write2_b32 v42, v33, v34 offset1:231
	ds_write_b32 v42, v31 offset:2772
	ds_write_b32 v42, v30 offset:4620
	v_add_co_u32_e64 v29, s[2:3], s14, v58
	v_addc_co_u32_e64 v30, s[2:3], 0, v59, s[2:3]
	s_waitcnt lgkmcnt(0)
	s_barrier
	global_load_dword v33, v[29:30], off offset:1448
	v_add_co_u32_e64 v29, s[2:3], s13, v58
	v_addc_co_u32_e64 v30, s[2:3], 0, v59, s[2:3]
	global_load_dword v34, v[29:30], off offset:924
	s_movk_i32 s2, 0x2000
	v_add_co_u32_e64 v31, s[2:3], s2, v58
	v_addc_co_u32_e64 v32, s[2:3], 0, v59, s[2:3]
	global_load_dword v58, v[29:30], off offset:2772
	global_load_dword v59, v[31:32], off offset:1972
	;; [unrolled: 1-line block ×4, first 2 shown]
	ds_read2_b32 v[29:30], v42 offset1:231
	v_add_u32_e32 v64, 0xa80, v42
	v_add_u32_e32 v65, 0x380, v42
	s_waitcnt lgkmcnt(0)
	v_lshrrev_b32_e32 v31, 16, v29
	v_lshrrev_b32_e32 v66, 16, v30
	s_waitcnt vmcnt(5)
	v_mul_f16_sdwa v32, v31, v33 dst_sel:DWORD dst_unused:UNUSED_PAD src0_sel:DWORD src1_sel:WORD_1
	v_mul_f16_sdwa v67, v29, v33 dst_sel:DWORD dst_unused:UNUSED_PAD src0_sel:DWORD src1_sel:WORD_1
	v_fma_f16 v29, v29, v33, -v32
	v_fma_f16 v31, v31, v33, v67
	v_pack_b32_f16 v29, v29, v31
	s_waitcnt vmcnt(4)
	v_mul_f16_sdwa v68, v66, v34 dst_sel:DWORD dst_unused:UNUSED_PAD src0_sel:DWORD src1_sel:WORD_1
	ds_write_b32 v42, v29
	v_mul_f16_sdwa v69, v30, v34 dst_sel:DWORD dst_unused:UNUSED_PAD src0_sel:DWORD src1_sel:WORD_1
	ds_read2_b32 v[31:32], v60 offset0:14 offset1:245
	v_fma_f16 v33, v30, v34, -v68
	ds_read2_b32 v[29:30], v61 offset0:12 offset1:243
	v_fma_f16 v34, v66, v34, v69
	v_pack_b32_f16 v33, v33, v34
	s_waitcnt lgkmcnt(1)
	v_lshrrev_b32_e32 v34, 16, v32
	s_waitcnt vmcnt(3)
	v_mul_f16_sdwa v66, v32, v58 dst_sel:DWORD dst_unused:UNUSED_PAD src0_sel:DWORD src1_sel:WORD_1
	s_waitcnt lgkmcnt(0)
	v_lshrrev_b32_e32 v67, 16, v29
	s_waitcnt vmcnt(1)
	v_mul_f16_sdwa v68, v29, v62 dst_sel:DWORD dst_unused:UNUSED_PAD src0_sel:DWORD src1_sel:WORD_1
	v_lshrrev_b32_e32 v69, 16, v31
	s_waitcnt vmcnt(0)
	v_mul_f16_sdwa v70, v31, v63 dst_sel:DWORD dst_unused:UNUSED_PAD src0_sel:DWORD src1_sel:WORD_1
	v_lshrrev_b32_e32 v71, 16, v30
	v_mul_f16_sdwa v73, v34, v58 dst_sel:DWORD dst_unused:UNUSED_PAD src0_sel:DWORD src1_sel:WORD_1
	v_fma_f16 v34, v34, v58, v66
	v_mul_f16_sdwa v66, v67, v62 dst_sel:DWORD dst_unused:UNUSED_PAD src0_sel:DWORD src1_sel:WORD_1
	v_fma_f16 v67, v67, v62, v68
	v_mul_f16_sdwa v68, v69, v63 dst_sel:DWORD dst_unused:UNUSED_PAD src0_sel:DWORD src1_sel:WORD_1
	v_mul_f16_sdwa v72, v30, v59 dst_sel:DWORD dst_unused:UNUSED_PAD src0_sel:DWORD src1_sel:WORD_1
	v_fma_f16 v69, v69, v63, v70
	v_mul_f16_sdwa v70, v71, v59 dst_sel:DWORD dst_unused:UNUSED_PAD src0_sel:DWORD src1_sel:WORD_1
	v_fma_f16 v32, v32, v58, -v73
	v_fma_f16 v29, v29, v62, -v66
	;; [unrolled: 1-line block ×3, first 2 shown]
	v_fma_f16 v71, v71, v59, v72
	v_fma_f16 v30, v30, v59, -v70
	v_pack_b32_f16 v32, v32, v34
	v_pack_b32_f16 v29, v29, v67
	v_pack_b32_f16 v31, v31, v69
	v_pack_b32_f16 v30, v30, v71
	ds_write2_b32 v64, v32, v29 offset0:21 offset1:252
	ds_write2_b32 v65, v33, v31 offset0:7 offset1:238
	ds_write_b32 v42, v30 offset:4620
	s_waitcnt lgkmcnt(0)
	s_barrier
	ds_read2_b32 v[58:59], v42 offset1:231
	ds_read2_b32 v[31:32], v60 offset0:14 offset1:245
	ds_read2_b32 v[60:61], v61 offset0:12 offset1:243
	s_waitcnt lgkmcnt(0)
	s_barrier
	v_pk_add_f16 v30, v58, v32 neg_lo:[0,1] neg_hi:[0,1]
	v_pk_add_f16 v34, v59, v60 neg_lo:[0,1] neg_hi:[0,1]
	;; [unrolled: 1-line block ×3, first 2 shown]
	v_pk_fma_f16 v29, v58, 2.0, v30 op_sel_hi:[1,0,1] neg_lo:[0,0,1] neg_hi:[0,0,1]
	v_pk_fma_f16 v33, v59, 2.0, v34 op_sel_hi:[1,0,1] neg_lo:[0,0,1] neg_hi:[0,0,1]
	;; [unrolled: 1-line block ×3, first 2 shown]
	v_lshrrev_b32_e32 v58, 16, v29
	ds_write_b64 v46, v[29:30]
	v_lshrrev_b32_e32 v59, 16, v33
	v_lshrrev_b32_e32 v46, 16, v31
	ds_write_b64 v47, v[33:34]
	ds_write_b64 v57, v[31:32]
	s_waitcnt lgkmcnt(0)
	s_barrier
	s_and_saveexec_b64 s[2:3], vcc
	s_cbranch_execz .LBB0_11
; %bb.10:
	v_add_u32_e32 v27, 0x600, v42
	ds_read2_b32 v[33:34], v27 offset0:12 offset1:210
	v_add_u32_e32 v27, 0xc00, v42
	ds_read2_b32 v[29:30], v42 offset1:198
	ds_read2_b32 v[31:32], v27 offset0:24 offset1:222
	ds_read_b32 v27, v42 offset:4752
	s_waitcnt lgkmcnt(3)
	v_lshrrev_b32_e32 v59, 16, v33
	s_waitcnt lgkmcnt(2)
	v_lshrrev_b32_e32 v58, 16, v29
	;; [unrolled: 2-line block ×4, first 2 shown]
.LBB0_11:
	s_or_b64 exec, exec, s[2:3]
	v_lshrrev_b32_e32 v47, 16, v30
	v_mul_f16_sdwa v57, v0, v47 dst_sel:DWORD dst_unused:UNUSED_PAD src0_sel:WORD_1 src1_sel:DWORD
	v_fma_f16 v57, v0, v30, v57
	v_mul_f16_sdwa v30, v0, v30 dst_sel:DWORD dst_unused:UNUSED_PAD src0_sel:WORD_1 src1_sel:DWORD
	v_fma_f16 v0, v0, v47, -v30
	v_mul_f16_sdwa v30, v1, v59 dst_sel:DWORD dst_unused:UNUSED_PAD src0_sel:WORD_1 src1_sel:DWORD
	v_fma_f16 v47, v1, v33, v30
	v_mul_f16_sdwa v30, v1, v33 dst_sel:DWORD dst_unused:UNUSED_PAD src0_sel:WORD_1 src1_sel:DWORD
	v_fma_f16 v59, v1, v59, -v30
	v_lshrrev_b32_e32 v1, 16, v34
	v_mul_f16_sdwa v30, v2, v1 dst_sel:DWORD dst_unused:UNUSED_PAD src0_sel:WORD_1 src1_sel:DWORD
	v_fma_f16 v60, v2, v34, v30
	v_mul_f16_sdwa v30, v2, v34 dst_sel:DWORD dst_unused:UNUSED_PAD src0_sel:WORD_1 src1_sel:DWORD
	v_fma_f16 v34, v2, v1, -v30
	v_mul_f16_sdwa v1, v3, v46 dst_sel:DWORD dst_unused:UNUSED_PAD src0_sel:WORD_1 src1_sel:DWORD
	v_fma_f16 v61, v3, v31, v1
	v_mul_f16_sdwa v1, v3, v31 dst_sel:DWORD dst_unused:UNUSED_PAD src0_sel:WORD_1 src1_sel:DWORD
	v_fma_f16 v3, v3, v46, -v1
	v_lshrrev_b32_e32 v1, 16, v32
	v_mul_f16_sdwa v2, v13, v1 dst_sel:DWORD dst_unused:UNUSED_PAD src0_sel:WORD_1 src1_sel:DWORD
	v_fma_f16 v33, v13, v32, v2
	v_mul_f16_sdwa v2, v13, v32 dst_sel:DWORD dst_unused:UNUSED_PAD src0_sel:WORD_1 src1_sel:DWORD
	v_fma_f16 v46, v13, v1, -v2
	v_mul_f16_sdwa v1, v14, v56 dst_sel:DWORD dst_unused:UNUSED_PAD src0_sel:WORD_1 src1_sel:DWORD
	v_fma_f16 v2, v14, v27, v1
	v_mul_f16_sdwa v1, v14, v27 dst_sel:DWORD dst_unused:UNUSED_PAD src0_sel:WORD_1 src1_sel:DWORD
	v_fma_f16 v13, v14, v56, -v1
	v_add_f16_e32 v1, v2, v57
	v_add_f16_e32 v30, v13, v0
	v_sub_f16_e32 v32, v57, v2
	v_sub_f16_e32 v2, v0, v13
	v_add_f16_e32 v13, v33, v47
	v_add_f16_e32 v31, v46, v59
	v_sub_f16_e32 v33, v47, v33
	v_sub_f16_e32 v14, v59, v46
	;; [unrolled: 4-line block ×4, first 2 shown]
	v_sub_f16_e32 v62, v27, v31
	v_add_f16_e32 v59, v46, v33
	v_add_f16_e32 v60, v3, v14
	v_sub_f16_e32 v63, v46, v33
	v_sub_f16_e32 v46, v32, v46
	;; [unrolled: 1-line block ×3, first 2 shown]
	v_add_f16_e32 v34, v0, v34
	v_add_f16_e32 v27, v27, v47
	v_sub_f16_e32 v61, v0, v13
	v_sub_f16_e32 v64, v3, v14
	v_add_f16_e32 v67, v60, v2
	v_add_f16_e32 v0, v29, v34
	;; [unrolled: 1-line block ×3, first 2 shown]
	v_mul_f16_e32 v58, 0x3a52, v56
	v_mul_f16_e32 v65, 0x3a52, v57
	s_movk_i32 s2, 0x2b26
	v_mul_f16_e32 v68, 0xb574, v46
	v_mul_f16_e32 v60, 0xb574, v69
	s_movk_i32 s6, 0x3846
	s_mov_b32 s7, 0xbcab
	v_add_f16_e32 v66, v59, v32
	s_mov_b32 s3, 0xb70e
	v_fma_f16 v46, v34, s7, v0
	v_fma_f16 v59, v27, s7, v3
	;; [unrolled: 1-line block ×6, first 2 shown]
	v_add_f16_e32 v34, v27, v46
	v_add_f16_e32 v47, v29, v59
	v_fma_f16 v56, v66, s3, v56
	v_fma_f16 v57, v67, s3, v57
	v_sub_f16_e32 v27, v34, v57
	v_add_f16_e32 v29, v56, v47
	s_barrier
	s_and_saveexec_b64 s[2:3], vcc
	s_cbranch_execz .LBB0_13
; %bb.12:
	v_sub_f16_e32 v32, v33, v32
	s_movk_i32 s6, 0x3b00
	v_sub_f16_e32 v30, v31, v30
	s_mov_b32 s7, 0xb9e0
	v_sub_f16_e32 v1, v13, v1
	v_sub_f16_e32 v2, v14, v2
	v_mul_f16_e32 v62, 0x2b26, v62
	v_mul_f16_e32 v63, 0x3846, v63
	v_fma_f16 v33, v32, s6, -v68
	v_fma_f16 v31, v30, s7, -v65
	;; [unrolled: 1-line block ×4, first 2 shown]
	s_movk_i32 s6, 0x39e0
	s_mov_b32 s7, 0xbb00
	v_mul_f16_e32 v61, 0x2b26, v61
	v_mul_f16_e32 v66, 0xb70e, v66
	;; [unrolled: 1-line block ×3, first 2 shown]
	v_fma_f16 v30, v30, s6, -v62
	v_fma_f16 v32, v32, s7, -v63
	v_mul_f16_e32 v67, 0xb70e, v67
	v_add_f16_e32 v30, v30, v59
	v_add_f16_e32 v32, v66, v32
	v_fma_f16 v2, v2, s7, -v64
	v_fma_f16 v1, v1, s6, -v61
	v_add_f16_e32 v33, v66, v33
	v_add_f16_e32 v31, v31, v59
	;; [unrolled: 1-line block ×4, first 2 shown]
	v_sub_f16_e32 v59, v30, v32
	v_add_f16_e32 v2, v67, v2
	v_add_f16_e32 v1, v1, v46
	;; [unrolled: 1-line block ×3, first 2 shown]
	v_mul_u32_u24_e32 v32, 14, v48
	v_add_f16_e32 v65, v33, v31
	v_sub_f16_e32 v58, v13, v14
	v_add_f16_e32 v46, v2, v1
	v_sub_f16_e32 v1, v1, v2
	v_sub_f16_e32 v2, v31, v33
	v_add_f16_e32 v13, v14, v13
	v_sub_f16_e32 v14, v47, v56
	v_add_f16_e32 v31, v57, v34
	v_or_b32_e32 v32, v32, v45
	s_mov_b32 s6, 0x5040100
	v_lshlrev_b32_e32 v32, 2, v32
	v_perm_b32 v0, v3, v0, s6
	v_pack_b32_f16 v3, v31, v14
	ds_write2_b32 v32, v0, v3 offset1:2
	v_pack_b32_f16 v0, v13, v2
	v_pack_b32_f16 v1, v1, v30
	ds_write2_b32 v32, v0, v1 offset0:4 offset1:6
	v_pack_b32_f16 v0, v46, v59
	v_pack_b32_f16 v1, v58, v65
	ds_write2_b32 v32, v0, v1 offset0:8 offset1:10
	v_perm_b32 v0, v29, v27, s6
	ds_write_b32 v32, v0 offset:48
.LBB0_13:
	s_or_b64 exec, exec, s[2:3]
	v_add_u32_e32 v0, 0x700, v42
	s_waitcnt lgkmcnt(0)
	s_barrier
	ds_read2_b32 v[13:14], v0 offset0:14 offset1:245
	v_add_u32_e32 v0, 0xe40, v42
	ds_read2_b32 v[30:31], v0 offset0:12 offset1:243
	ds_read2_b32 v[1:2], v42 offset1:231
	s_mov_b32 s2, 0xbaee
	s_waitcnt lgkmcnt(2)
	v_lshrrev_b32_e32 v0, 16, v13
	v_mul_f16_sdwa v46, v15, v0 dst_sel:DWORD dst_unused:UNUSED_PAD src0_sel:WORD_1 src1_sel:DWORD
	s_waitcnt lgkmcnt(1)
	v_lshrrev_b32_e32 v32, 16, v30
	v_fma_f16 v46, v15, v13, v46
	v_mul_f16_sdwa v13, v15, v13 dst_sel:DWORD dst_unused:UNUSED_PAD src0_sel:WORD_1 src1_sel:DWORD
	v_fma_f16 v47, v15, v0, -v13
	v_mul_f16_sdwa v0, v16, v32 dst_sel:DWORD dst_unused:UNUSED_PAD src0_sel:WORD_1 src1_sel:DWORD
	v_lshrrev_b32_e32 v34, 16, v14
	v_fma_f16 v48, v16, v30, v0
	v_mul_f16_sdwa v0, v16, v30 dst_sel:DWORD dst_unused:UNUSED_PAD src0_sel:WORD_1 src1_sel:DWORD
	v_fma_f16 v16, v16, v32, -v0
	v_mul_f16_sdwa v0, v17, v34 dst_sel:DWORD dst_unused:UNUSED_PAD src0_sel:WORD_1 src1_sel:DWORD
	;; [unrolled: 5-line block ×3, first 2 shown]
	v_add_f16_e32 v13, v46, v48
	s_waitcnt lgkmcnt(0)
	v_lshrrev_b32_e32 v3, 16, v1
	v_fma_f16 v34, v18, v31, v0
	v_mul_f16_sdwa v0, v18, v31 dst_sel:DWORD dst_unused:UNUSED_PAD src0_sel:WORD_1 src1_sel:DWORD
	v_fma_f16 v13, v13, -0.5, v1
	v_sub_f16_e32 v14, v47, v16
	s_movk_i32 s3, 0x3aee
	v_fma_f16 v45, v18, v45, -v0
	v_add_f16_e32 v0, v1, v46
	v_fma_f16 v1, v14, s2, v13
	v_fma_f16 v13, v14, s3, v13
	v_add_f16_e32 v14, v3, v47
	v_add_f16_e32 v15, v14, v16
	;; [unrolled: 1-line block ×3, first 2 shown]
	v_fma_f16 v3, v14, -0.5, v3
	v_sub_f16_e32 v14, v46, v48
	v_fma_f16 v31, v14, s3, v3
	v_fma_f16 v30, v14, s2, v3
	v_add_f16_e32 v3, v2, v32
	v_add_f16_e32 v14, v3, v34
	;; [unrolled: 1-line block ×3, first 2 shown]
	v_lshrrev_b32_e32 v33, 16, v2
	v_fma_f16 v3, v3, -0.5, v2
	v_sub_f16_e32 v16, v17, v45
	v_fma_f16 v2, v16, s2, v3
	v_fma_f16 v3, v16, s3, v3
	v_add_f16_e32 v16, v33, v17
	v_add_f16_e32 v18, v16, v45
	;; [unrolled: 1-line block ×4, first 2 shown]
	v_fma_f16 v17, v16, -0.5, v33
	v_sub_f16_e32 v32, v32, v34
	v_fma_f16 v16, v32, s3, v17
	v_fma_f16 v17, v32, s2, v17
	v_pack_b32_f16 v32, v0, v15
	v_pack_b32_f16 v33, v1, v31
	s_barrier
	ds_write2_b32 v50, v32, v33 offset1:14
	v_pack_b32_f16 v32, v13, v30
	ds_write_b32 v50, v32 offset:112
	v_pack_b32_f16 v32, v14, v18
	v_pack_b32_f16 v33, v2, v16
	ds_write2_b32 v49, v32, v33 offset1:14
	v_pack_b32_f16 v32, v3, v17
	ds_write_b32 v49, v32 offset:112
	s_waitcnt lgkmcnt(0)
	s_barrier
	s_and_saveexec_b64 s[2:3], s[0:1]
	s_cbranch_execz .LBB0_15
; %bb.14:
	v_add_u32_e32 v2, 0x200, v42
	v_add_u32_e32 v17, 0xa00, v42
	ds_read2_b32 v[13:14], v2 offset0:124 offset1:250
	v_add_u32_e32 v2, 0x600, v42
	ds_read2_b32 v[27:28], v17 offset0:116 offset1:242
	v_add_u32_e32 v17, 0xe00, v42
	ds_read2_b32 v[0:1], v42 offset1:126
	ds_read2_b32 v[2:3], v2 offset0:120 offset1:246
	ds_read2_b32 v[25:26], v17 offset0:112 offset1:238
	ds_read_b32 v54, v42 offset:5040
	s_waitcnt lgkmcnt(5)
	v_lshrrev_b32_e32 v30, 16, v13
	s_waitcnt lgkmcnt(3)
	v_lshrrev_b32_e32 v15, 16, v0
	v_lshrrev_b32_e32 v31, 16, v1
	;; [unrolled: 1-line block ×3, first 2 shown]
	s_waitcnt lgkmcnt(2)
	v_lshrrev_b32_e32 v16, 16, v2
	v_lshrrev_b32_e32 v17, 16, v3
	;; [unrolled: 1-line block ×4, first 2 shown]
	s_waitcnt lgkmcnt(1)
	v_lshrrev_b32_e32 v52, 16, v25
	v_lshrrev_b32_e32 v53, 16, v26
	s_waitcnt lgkmcnt(0)
	v_lshrrev_b32_e32 v55, 16, v54
.LBB0_15:
	s_or_b64 exec, exec, s[2:3]
	s_barrier
	s_and_saveexec_b64 s[2:3], s[0:1]
	s_cbranch_execz .LBB0_17
; %bb.16:
	v_mul_f16_sdwa v33, v4, v1 dst_sel:DWORD dst_unused:UNUSED_PAD src0_sel:WORD_1 src1_sel:DWORD
	v_mul_f16_sdwa v32, v20, v54 dst_sel:DWORD dst_unused:UNUSED_PAD src0_sel:WORD_1 src1_sel:DWORD
	v_fma_f16 v33, v4, v31, -v33
	v_mul_f16_sdwa v31, v4, v31 dst_sel:DWORD dst_unused:UNUSED_PAD src0_sel:WORD_1 src1_sel:DWORD
	v_mul_f16_sdwa v47, v5, v13 dst_sel:DWORD dst_unused:UNUSED_PAD src0_sel:WORD_1 src1_sel:DWORD
	v_fma_f16 v32, v20, v55, -v32
	v_fma_f16 v1, v4, v1, v31
	v_mul_f16_sdwa v4, v20, v55 dst_sel:DWORD dst_unused:UNUSED_PAD src0_sel:WORD_1 src1_sel:DWORD
	v_mul_f16_sdwa v46, v19, v26 dst_sel:DWORD dst_unused:UNUSED_PAD src0_sel:WORD_1 src1_sel:DWORD
	v_fma_f16 v47, v5, v30, -v47
	v_mul_f16_sdwa v30, v5, v30 dst_sel:DWORD dst_unused:UNUSED_PAD src0_sel:WORD_1 src1_sel:DWORD
	v_add_f16_e32 v34, v32, v33
	v_fma_f16 v4, v20, v54, v4
	v_fma_f16 v46, v19, v53, -v46
	v_fma_f16 v5, v5, v13, v30
	v_mul_f16_sdwa v13, v19, v53 dst_sel:DWORD dst_unused:UNUSED_PAD src0_sel:WORD_1 src1_sel:DWORD
	v_mul_f16_e32 v45, 0xbbad, v34
	v_sub_f16_e32 v20, v1, v4
	s_movk_i32 s12, 0x3482
	v_add_f16_e32 v48, v46, v47
	v_fma_f16 v13, v19, v26, v13
	v_fma_f16 v31, v20, s12, v45
	v_mul_f16_e32 v49, 0x3abb, v48
	v_sub_f16_e32 v19, v5, v13
	s_mov_b32 s7, 0xb853
	v_add_f16_e32 v31, v15, v31
	v_fma_f16 v26, v19, s7, v49
	v_add_f16_e32 v26, v26, v31
	v_mul_f16_sdwa v31, v6, v14 dst_sel:DWORD dst_unused:UNUSED_PAD src0_sel:WORD_1 src1_sel:DWORD
	v_mul_f16_sdwa v30, v11, v25 dst_sel:DWORD dst_unused:UNUSED_PAD src0_sel:WORD_1 src1_sel:DWORD
	v_fma_f16 v31, v6, v18, -v31
	v_mul_f16_sdwa v18, v6, v18 dst_sel:DWORD dst_unused:UNUSED_PAD src0_sel:WORD_1 src1_sel:DWORD
	v_fma_f16 v30, v11, v52, -v30
	v_fma_f16 v6, v6, v14, v18
	v_mul_f16_sdwa v14, v11, v52 dst_sel:DWORD dst_unused:UNUSED_PAD src0_sel:WORD_1 src1_sel:DWORD
	v_add_f16_e32 v50, v30, v31
	v_fma_f16 v11, v11, v25, v14
	v_mul_f16_e32 v53, 0xb93d, v50
	v_sub_f16_e32 v14, v6, v11
	s_movk_i32 s21, 0x3a0c
	v_fma_f16 v18, v14, s21, v53
	v_add_f16_e32 v18, v18, v26
	v_mul_f16_sdwa v26, v7, v2 dst_sel:DWORD dst_unused:UNUSED_PAD src0_sel:WORD_1 src1_sel:DWORD
	v_mul_f16_sdwa v25, v10, v28 dst_sel:DWORD dst_unused:UNUSED_PAD src0_sel:WORD_1 src1_sel:DWORD
	v_fma_f16 v26, v7, v16, -v26
	v_mul_f16_sdwa v16, v7, v16 dst_sel:DWORD dst_unused:UNUSED_PAD src0_sel:WORD_1 src1_sel:DWORD
	v_fma_f16 v25, v10, v51, -v25
	v_fma_f16 v2, v7, v2, v16
	v_mul_f16_sdwa v7, v10, v51 dst_sel:DWORD dst_unused:UNUSED_PAD src0_sel:WORD_1 src1_sel:DWORD
	v_add_f16_e32 v52, v25, v26
	v_fma_f16 v7, v10, v28, v7
	v_mul_f16_e32 v54, 0x36a6, v52
	v_sub_f16_e32 v10, v2, v7
	s_mov_b32 s15, 0xbb47
	v_fma_f16 v16, v10, s15, v54
	v_mul_f16_sdwa v28, v8, v3 dst_sel:DWORD dst_unused:UNUSED_PAD src0_sel:WORD_1 src1_sel:DWORD
	v_add_f16_e32 v16, v16, v18
	v_mul_f16_sdwa v18, v9, v27 dst_sel:DWORD dst_unused:UNUSED_PAD src0_sel:WORD_1 src1_sel:DWORD
	v_fma_f16 v28, v8, v17, -v28
	v_mul_f16_sdwa v17, v8, v17 dst_sel:DWORD dst_unused:UNUSED_PAD src0_sel:WORD_1 src1_sel:DWORD
	v_fma_f16 v18, v9, v29, -v18
	v_fma_f16 v3, v8, v3, v17
	v_mul_f16_sdwa v8, v9, v29 dst_sel:DWORD dst_unused:UNUSED_PAD src0_sel:WORD_1 src1_sel:DWORD
	v_add_f16_e32 v51, v18, v28
	v_fma_f16 v8, v9, v27, v8
	v_mul_f16_e32 v55, 0xb08e, v51
	v_sub_f16_e32 v9, v3, v8
	s_movk_i32 s18, 0x3beb
	v_fma_f16 v17, v9, s18, v55
	v_sub_f16_e32 v27, v33, v32
	s_mov_b32 s0, 0xbbad
	v_add_f16_e32 v16, v17, v16
	v_add_f16_e32 v17, v4, v1
	v_mul_f16_e32 v29, 0xb482, v27
	v_sub_f16_e32 v58, v47, v46
	s_movk_i32 s1, 0x3abb
	v_fma_f16 v56, v17, s0, v29
	v_add_f16_e32 v57, v13, v5
	v_mul_f16_e32 v59, 0x3853, v58
	v_add_f16_e32 v56, v0, v56
	v_fma_f16 v60, v57, s1, v59
	v_sub_f16_e32 v61, v31, v30
	s_mov_b32 s6, 0xb93d
	v_add_f16_e32 v56, v60, v56
	v_add_f16_e32 v60, v11, v6
	v_mul_f16_e32 v62, 0xba0c, v61
	v_fma_f16 v63, v60, s6, v62
	v_sub_f16_e32 v64, v26, v25
	s_movk_i32 s13, 0x36a6
	v_add_f16_e32 v56, v63, v56
	v_add_f16_e32 v63, v7, v2
	v_mul_f16_e32 v65, 0x3b47, v64
	v_fma_f16 v66, v63, s13, v65
	v_sub_f16_e32 v67, v28, v18
	s_mov_b32 s14, 0xb08e
	v_add_f16_e32 v56, v66, v56
	v_add_f16_e32 v66, v8, v3
	v_mul_f16_e32 v68, 0xbbeb, v67
	v_fma_f16 v69, v66, s14, v68
	v_add_f16_e32 v56, v69, v56
	v_mul_f16_e32 v69, 0xb93d, v34
	s_mov_b32 s20, 0xbbeb
	v_fma_f16 v70, v20, s21, v69
	v_mul_f16_e32 v71, 0xb08e, v48
	v_add_f16_e32 v70, v15, v70
	v_fma_f16 v72, v19, s20, v71
	s_movk_i32 s19, 0x3853
	v_add_f16_e32 v70, v72, v70
	v_mul_f16_e32 v72, 0x3abb, v50
	v_fma_f16 v73, v14, s19, v72
	v_add_f16_e32 v70, v73, v70
	v_mul_f16_e32 v73, 0xbbad, v52
	v_fma_f16 v74, v10, s12, v73
	v_add_f16_e32 v1, v0, v1
	v_add_f16_e32 v70, v74, v70
	v_mul_f16_e32 v74, 0x36a6, v51
	v_add_f16_e32 v1, v5, v1
	v_fma_f16 v75, v9, s15, v74
	v_add_f16_e32 v1, v6, v1
	v_add_f16_e32 v70, v75, v70
	v_mul_f16_e32 v75, 0xba0c, v27
	v_add_f16_e32 v1, v2, v1
	v_fma_f16 v76, v17, s6, v75
	v_mul_f16_e32 v77, 0x3beb, v58
	v_add_f16_e32 v1, v3, v1
	v_add_f16_e32 v76, v0, v76
	v_fma_f16 v78, v57, s14, v77
	v_add_f16_e32 v1, v8, v1
	v_add_f16_e32 v76, v78, v76
	v_mul_f16_e32 v78, 0xb853, v61
	v_add_f16_e32 v1, v7, v1
	s_mov_b32 s16, 0xb482
	v_fma_f16 v79, v60, s1, v78
	v_add_f16_e32 v1, v11, v1
	v_add_f16_e32 v76, v79, v76
	v_mul_f16_e32 v79, 0xb482, v64
	v_add_f16_e32 v1, v13, v1
	v_fma_f16 v3, v20, s16, v45
	s_mov_b32 s17, 0xba0c
	v_fma_f16 v80, v63, s0, v79
	v_add_f16_e32 v1, v4, v1
	v_add_f16_e32 v3, v15, v3
	v_fma_f16 v4, v19, s19, v49
	s_movk_i32 s22, 0x3b47
	v_add_f16_e32 v76, v80, v76
	v_mul_f16_e32 v80, 0x3b47, v67
	v_add_f16_e32 v3, v4, v3
	v_fma_f16 v4, v14, s17, v53
	v_fma_f16 v81, v66, s13, v80
	v_add_f16_e32 v3, v4, v3
	v_fma_f16 v4, v10, s22, v54
	v_add_f16_e32 v76, v81, v76
	v_mul_f16_e32 v81, 0xb08e, v34
	v_add_f16_e32 v3, v4, v3
	v_fma_f16 v4, v9, s20, v55
	v_fma_f16 v82, v20, s18, v81
	v_mul_f16_e32 v83, 0xbbad, v48
	v_add_f16_e32 v3, v4, v3
	v_fma_f16 v4, v17, s0, -v29
	v_add_f16_e32 v82, v15, v82
	v_fma_f16 v84, v19, s16, v83
	v_add_f16_e32 v4, v0, v4
	v_fma_f16 v5, v57, s1, -v59
	v_add_f16_e32 v82, v84, v82
	v_mul_f16_e32 v84, 0x36a6, v50
	v_add_f16_e32 v4, v5, v4
	v_fma_f16 v5, v60, s6, -v62
	v_fma_f16 v85, v14, s15, v84
	v_add_f16_e32 v4, v5, v4
	v_fma_f16 v5, v63, s13, -v65
	v_add_f16_e32 v82, v85, v82
	v_mul_f16_e32 v85, 0x3abb, v52
	v_add_f16_e32 v4, v5, v4
	v_fma_f16 v5, v66, s14, -v68
	v_fma_f16 v86, v10, s19, v85
	v_add_f16_e32 v4, v5, v4
	v_fma_f16 v5, v20, s17, v69
	v_add_f16_e32 v82, v86, v82
	v_mul_f16_e32 v86, 0xb93d, v51
	v_add_f16_e32 v5, v15, v5
	v_fma_f16 v6, v19, s18, v71
	v_fma_f16 v87, v9, s21, v86
	v_add_f16_e32 v5, v6, v5
	v_fma_f16 v6, v14, s7, v72
	v_add_f16_e32 v82, v87, v82
	v_mul_f16_e32 v87, 0xbbeb, v27
	v_add_f16_e32 v5, v6, v5
	v_fma_f16 v6, v10, s16, v73
	v_fma_f16 v88, v17, s14, v87
	v_mul_f16_e32 v89, 0x3482, v58
	v_add_f16_e32 v5, v6, v5
	v_fma_f16 v6, v9, s22, v74
	v_add_f16_e32 v88, v0, v88
	v_fma_f16 v90, v57, s0, v89
	v_add_f16_e32 v5, v6, v5
	v_fma_f16 v6, v17, s6, -v75
	v_add_f16_e32 v88, v90, v88
	v_mul_f16_e32 v90, 0x3b47, v61
	v_add_f16_e32 v6, v0, v6
	v_fma_f16 v7, v57, s14, -v77
	v_fma_f16 v91, v60, s13, v90
	v_add_f16_e32 v6, v7, v6
	v_fma_f16 v7, v60, s1, -v78
	v_add_f16_e32 v88, v91, v88
	v_mul_f16_e32 v91, 0xb853, v64
	v_add_f16_e32 v6, v7, v6
	v_fma_f16 v7, v63, s0, -v79
	v_fma_f16 v92, v63, s1, v91
	v_add_f16_e32 v6, v7, v6
	v_fma_f16 v7, v66, s13, -v80
	v_add_f16_e32 v88, v92, v88
	v_mul_f16_e32 v92, 0xba0c, v67
	v_add_f16_e32 v6, v7, v6
	v_fma_f16 v7, v20, s20, v81
	v_fma_f16 v93, v66, s6, v92
	v_add_f16_e32 v7, v15, v7
	v_fma_f16 v8, v19, s12, v83
	v_add_f16_e32 v88, v93, v88
	v_mul_f16_e32 v93, 0x36a6, v34
	v_add_f16_e32 v7, v8, v7
	v_fma_f16 v8, v14, s22, v84
	v_fma_f16 v94, v20, s22, v93
	v_mul_f16_e32 v95, 0xb93d, v48
	v_add_f16_e32 v7, v8, v7
	v_fma_f16 v8, v10, s7, v85
	v_add_f16_e32 v94, v15, v94
	v_fma_f16 v96, v19, s21, v95
	;; [unrolled: 2-line block ×3, first 2 shown]
	v_add_f16_e32 v94, v96, v94
	v_mul_f16_e32 v96, 0xbbad, v50
	v_add_f16_e32 v7, v8, v7
	v_fma_f16 v8, v17, s14, -v87
	v_fma_f16 v97, v14, s16, v96
	v_add_f16_e32 v8, v0, v8
	v_fma_f16 v11, v57, s0, -v89
	v_add_f16_e32 v94, v97, v94
	v_mul_f16_e32 v97, 0xb08e, v52
	v_add_f16_e32 v8, v11, v8
	v_fma_f16 v11, v60, s13, -v90
	v_fma_f16 v98, v10, s20, v97
	v_add_f16_e32 v8, v11, v8
	v_fma_f16 v11, v63, s1, -v91
	v_add_f16_e32 v94, v98, v94
	v_mul_f16_e32 v98, 0x3abb, v51
	v_add_f16_e32 v8, v11, v8
	v_fma_f16 v11, v66, s6, -v92
	v_fma_f16 v99, v9, s7, v98
	v_add_f16_e32 v8, v11, v8
	v_fma_f16 v11, v20, s15, v93
	v_add_f16_e32 v94, v99, v94
	v_mul_f16_e32 v99, 0xbb47, v27
	v_add_f16_e32 v2, v33, v15
	v_add_f16_e32 v11, v15, v11
	v_fma_f16 v13, v19, s17, v95
	v_fma_f16 v100, v17, s13, v99
	v_mul_f16_e32 v101, 0xba0c, v58
	v_add_f16_e32 v2, v47, v2
	v_add_f16_e32 v11, v13, v11
	v_fma_f16 v13, v14, s12, v96
	v_add_f16_e32 v100, v0, v100
	v_fma_f16 v102, v57, s6, v101
	v_add_f16_e32 v2, v31, v2
	v_add_f16_e32 v11, v13, v11
	v_fma_f16 v13, v10, s18, v97
	v_add_f16_e32 v100, v102, v100
	v_mul_f16_e32 v102, 0x3482, v61
	v_add_f16_e32 v2, v26, v2
	v_add_f16_e32 v11, v13, v11
	v_fma_f16 v13, v9, s19, v98
	v_fma_f16 v103, v60, s0, v102
	v_add_f16_e32 v2, v28, v2
	v_add_f16_e32 v11, v13, v11
	v_fma_f16 v13, v17, s13, -v99
	v_add_f16_e32 v100, v103, v100
	v_mul_f16_e32 v103, 0x3beb, v64
	v_add_f16_e32 v2, v18, v2
	v_add_f16_e32 v13, v0, v13
	v_fma_f16 v18, v57, s6, -v101
	v_fma_f16 v104, v63, s14, v103
	v_add_f16_e32 v13, v18, v13
	v_fma_f16 v18, v60, s0, -v102
	v_add_f16_e32 v100, v104, v100
	v_mul_f16_e32 v104, 0x3853, v67
	v_add_f16_e32 v13, v18, v13
	v_fma_f16 v18, v63, s14, -v103
	v_fma_f16 v105, v66, s1, v104
	v_mul_f16_e32 v34, 0x3abb, v34
	v_add_f16_e32 v13, v18, v13
	v_fma_f16 v18, v66, s1, -v104
	v_add_f16_e32 v100, v105, v100
	v_fma_f16 v105, v20, s19, v34
	v_mul_f16_e32 v48, 0x36a6, v48
	v_add_f16_e32 v13, v18, v13
	v_fma_f16 v18, v20, s7, v34
	v_add_f16_e32 v105, v15, v105
	v_fma_f16 v106, v19, s22, v48
	v_mul_f16_e32 v50, 0xb08e, v50
	v_add_f16_e32 v15, v15, v18
	v_fma_f16 v18, v19, s15, v48
	;; [unrolled: 5-line block ×5, first 2 shown]
	v_add_f16_e32 v105, v106, v105
	v_fma_f16 v106, v17, s1, v27
	v_mul_f16_e32 v58, 0xbb47, v58
	v_add_f16_e32 v9, v9, v10
	v_fma_f16 v10, v17, s1, -v27
	v_add_f16_e32 v106, v0, v106
	v_fma_f16 v107, v57, s13, v58
	v_mul_f16_e32 v61, 0xbbeb, v61
	v_add_f16_e32 v0, v0, v10
	v_fma_f16 v10, v57, s13, -v58
	v_add_f16_e32 v106, v107, v106
	v_fma_f16 v107, v60, s14, v61
	v_mul_f16_e32 v64, 0xba0c, v64
	v_add_f16_e32 v2, v25, v2
	v_add_f16_e32 v0, v10, v0
	v_fma_f16 v10, v60, s14, -v61
	v_add_f16_e32 v106, v107, v106
	v_fma_f16 v107, v63, s6, v64
	v_mul_f16_e32 v67, 0xb482, v67
	v_add_f16_e32 v2, v30, v2
	v_add_f16_e32 v0, v10, v0
	v_fma_f16 v10, v63, s6, -v64
	v_add_f16_e32 v106, v107, v106
	v_fma_f16 v107, v66, s0, v67
	v_add_f16_e32 v2, v46, v2
	v_add_f16_e32 v0, v10, v0
	v_fma_f16 v10, v66, s0, -v67
	v_add_f16_e32 v106, v107, v106
	v_add_f16_e32 v2, v32, v2
	v_add_f16_e32 v0, v10, v0
	v_mul_u32_u24_e32 v10, 0x1ce, v43
	v_add_lshl_u32 v10, v10, v44, 2
	v_pack_b32_f16 v1, v1, v2
	v_pack_b32_f16 v2, v106, v105
	ds_write2_b32 v10, v1, v2 offset1:42
	v_pack_b32_f16 v1, v100, v94
	v_pack_b32_f16 v2, v88, v82
	ds_write2_b32 v10, v1, v2 offset0:84 offset1:126
	v_pack_b32_f16 v1, v76, v70
	v_pack_b32_f16 v2, v56, v16
	ds_write2_b32 v10, v1, v2 offset0:168 offset1:210
	v_pack_b32_f16 v1, v4, v3
	v_pack_b32_f16 v2, v6, v5
	v_add_u32_e32 v3, 0x200, v10
	ds_write2_b32 v3, v1, v2 offset0:124 offset1:166
	v_pack_b32_f16 v1, v8, v7
	v_pack_b32_f16 v2, v13, v11
	v_add_u32_e32 v3, 0x400, v10
	v_pack_b32_f16 v0, v0, v9
	ds_write2_b32 v3, v1, v2 offset0:80 offset1:122
	ds_write_b32 v10, v0 offset:1680
.LBB0_17:
	s_or_b64 exec, exec, s[2:3]
	v_add_u32_e32 v8, 0x700, v42
	s_waitcnt lgkmcnt(0)
	s_barrier
	ds_read2_b32 v[2:3], v8 offset0:14 offset1:245
	v_add_u32_e32 v10, 0xe40, v42
	ds_read2_b32 v[4:5], v10 offset0:12 offset1:243
	ds_read2_b32 v[0:1], v42 offset1:231
	s_mov_b32 s0, 0xbaee
	s_waitcnt lgkmcnt(2)
	v_lshrrev_b32_e32 v7, 16, v2
	v_mul_f16_sdwa v15, v21, v7 dst_sel:DWORD dst_unused:UNUSED_PAD src0_sel:WORD_1 src1_sel:DWORD
	s_waitcnt lgkmcnt(1)
	v_lshrrev_b32_e32 v9, 16, v4
	v_fma_f16 v15, v21, v2, v15
	v_mul_f16_sdwa v2, v21, v2 dst_sel:DWORD dst_unused:UNUSED_PAD src0_sel:WORD_1 src1_sel:DWORD
	v_fma_f16 v2, v21, v7, -v2
	v_mul_f16_sdwa v7, v22, v9 dst_sel:DWORD dst_unused:UNUSED_PAD src0_sel:WORD_1 src1_sel:DWORD
	v_lshrrev_b32_e32 v13, 16, v3
	v_fma_f16 v7, v22, v4, v7
	v_mul_f16_sdwa v4, v22, v4 dst_sel:DWORD dst_unused:UNUSED_PAD src0_sel:WORD_1 src1_sel:DWORD
	v_fma_f16 v4, v22, v9, -v4
	v_mul_f16_sdwa v9, v23, v13 dst_sel:DWORD dst_unused:UNUSED_PAD src0_sel:WORD_1 src1_sel:DWORD
	;; [unrolled: 5-line block ×3, first 2 shown]
	v_fma_f16 v13, v24, v5, v13
	v_mul_f16_sdwa v5, v24, v5 dst_sel:DWORD dst_unused:UNUSED_PAD src0_sel:WORD_1 src1_sel:DWORD
	v_add_f16_e32 v16, v15, v7
	s_waitcnt lgkmcnt(0)
	v_lshrrev_b32_e32 v6, 16, v0
	v_fma_f16 v5, v24, v14, -v5
	v_add_f16_e32 v14, v0, v15
	v_fma_f16 v0, v16, -0.5, v0
	v_sub_f16_e32 v16, v2, v4
	s_movk_i32 s1, 0x3aee
	v_fma_f16 v17, v16, s0, v0
	v_fma_f16 v0, v16, s1, v0
	v_add_f16_e32 v16, v6, v2
	v_add_f16_e32 v2, v2, v4
	;; [unrolled: 1-line block ×4, first 2 shown]
	v_fma_f16 v2, v2, -0.5, v6
	v_sub_f16_e32 v4, v15, v7
	v_add_f16_e32 v7, v9, v13
	v_lshrrev_b32_e32 v11, 16, v1
	v_fma_f16 v6, v4, s1, v2
	v_fma_f16 v2, v4, s0, v2
	v_add_f16_e32 v4, v1, v9
	v_fma_f16 v1, v7, -0.5, v1
	v_sub_f16_e32 v7, v3, v5
	v_fma_f16 v15, v7, s0, v1
	v_fma_f16 v1, v7, s1, v1
	v_add_f16_e32 v7, v11, v3
	v_add_f16_e32 v3, v3, v5
	v_add_f16_e32 v4, v4, v13
	v_add_f16_e32 v7, v7, v5
	v_fma_f16 v3, v3, -0.5, v11
	v_sub_f16_e32 v5, v9, v13
	v_pack_b32_f16 v0, v0, v2
	v_fma_f16 v9, v5, s1, v3
	v_fma_f16 v3, v5, s0, v3
	v_pack_b32_f16 v5, v14, v16
	v_pack_b32_f16 v6, v17, v6
	ds_write_b32 v42, v0 offset:3696
	v_pack_b32_f16 v0, v4, v7
	ds_write_b32 v42, v6 offset:1848
	ds_write2_b32 v42, v5, v0 offset1:231
	v_pack_b32_f16 v0, v15, v9
	ds_write_b32 v42, v0 offset:2772
	v_pack_b32_f16 v0, v1, v3
	ds_write_b32 v42, v0 offset:4620
	s_waitcnt lgkmcnt(0)
	s_barrier
	ds_read2_b32 v[0:1], v42 offset1:231
	s_mov_b32 s2, 0x5e918c
	s_mov_b32 s3, 0x3f47a463
	s_movk_i32 s6, 0x1ff
	s_movk_i32 s7, 0xffe
	s_waitcnt lgkmcnt(0)
	v_lshrrev_b32_e32 v9, 16, v0
	v_mul_f16_sdwa v2, v41, v9 dst_sel:DWORD dst_unused:UNUSED_PAD src0_sel:WORD_1 src1_sel:DWORD
	v_fma_f16 v2, v41, v0, v2
	v_cvt_f32_f16_e32 v4, v2
	v_mad_u64_u32 v[2:3], s[0:1], s10, v12, 0
	v_mul_f16_sdwa v0, v41, v0 dst_sel:DWORD dst_unused:UNUSED_PAD src0_sel:WORD_1 src1_sel:DWORD
	v_cvt_f64_f32_e32 v[4:5], v4
	v_fma_f16 v0, v41, v9, -v0
	s_movk_i32 s10, 0x40f
	v_mul_f64 v[4:5], v[4:5], s[2:3]
	v_mad_u64_u32 v[6:7], s[0:1], s11, v12, v[3:4]
	v_and_or_b32 v4, v5, s6, v4
	v_cmp_ne_u32_e32 vcc, 0, v4
	v_mov_b32_e32 v3, v6
	v_cndmask_b32_e64 v4, 0, 1, vcc
	v_lshrrev_b32_e32 v6, 8, v5
	v_bfe_u32 v7, v5, 20, 11
	v_and_or_b32 v4, v6, s7, v4
	v_sub_u32_e32 v11, 0x3f1, v7
	v_or_b32_e32 v6, 0x1000, v4
	v_med3_i32 v11, v11, 0, 13
	v_lshrrev_b32_e32 v12, v11, v6
	v_lshlrev_b32_e32 v11, v11, v12
	v_cmp_ne_u32_e32 vcc, v11, v6
	v_cndmask_b32_e64 v6, 0, 1, vcc
	v_add_u32_e32 v11, 0xfffffc10, v7
	v_or_b32_e32 v6, v12, v6
	v_lshl_or_b32 v7, v11, 12, v4
	v_cmp_gt_i32_e32 vcc, 1, v11
	v_cndmask_b32_e32 v6, v7, v6, vcc
	v_and_b32_e32 v7, 7, v6
	v_cmp_lt_i32_e32 vcc, 5, v7
	v_cmp_eq_u32_e64 s[0:1], 3, v7
	v_cvt_f32_f16_e32 v7, v0
	v_lshrrev_b32_e32 v6, 2, v6
	s_or_b64 vcc, s[0:1], vcc
	v_addc_co_u32_e32 v9, vcc, 0, v6, vcc
	v_cvt_f64_f32_e32 v[6:7], v7
	v_mov_b32_e32 v0, 0x7c00
	v_cmp_gt_i32_e32 vcc, 31, v11
	v_cndmask_b32_e32 v9, v0, v9, vcc
	v_mul_f64 v[6:7], v[6:7], s[2:3]
	v_cmp_ne_u32_e32 vcc, 0, v4
	v_cndmask_b32_e64 v4, 0, 1, vcc
	v_lshl_or_b32 v4, v4, 9, v0
	v_cmp_eq_u32_e32 vcc, s10, v11
	v_cndmask_b32_e32 v4, v9, v4, vcc
	v_lshrrev_b32_e32 v5, 16, v5
	s_mov_b32 s11, 0x8000
	v_and_or_b32 v11, v5, s11, v4
	v_and_or_b32 v4, v7, s6, v6
	v_cmp_ne_u32_e32 vcc, 0, v4
	v_cndmask_b32_e64 v4, 0, 1, vcc
	v_lshrrev_b32_e32 v5, 8, v7
	v_bfe_u32 v6, v7, 20, 11
	v_and_or_b32 v4, v5, s7, v4
	v_sub_u32_e32 v9, 0x3f1, v6
	v_or_b32_e32 v5, 0x1000, v4
	v_med3_i32 v9, v9, 0, 13
	v_lshrrev_b32_e32 v12, v9, v5
	v_lshlrev_b32_e32 v9, v9, v12
	v_cmp_ne_u32_e32 vcc, v9, v5
	v_cndmask_b32_e64 v5, 0, 1, vcc
	v_add_u32_e32 v6, 0xfffffc10, v6
	v_or_b32_e32 v5, v12, v5
	v_lshl_or_b32 v9, v6, 12, v4
	v_cmp_gt_i32_e32 vcc, 1, v6
	v_cndmask_b32_e32 v5, v9, v5, vcc
	v_and_b32_e32 v9, 7, v5
	v_cmp_lt_i32_e32 vcc, 5, v9
	v_cmp_eq_u32_e64 s[0:1], 3, v9
	v_lshrrev_b32_e32 v5, 2, v5
	s_or_b64 vcc, s[0:1], vcc
	v_addc_co_u32_e32 v5, vcc, 0, v5, vcc
	v_cmp_gt_i32_e32 vcc, 31, v6
	v_cndmask_b32_e32 v9, v0, v5, vcc
	v_cmp_ne_u32_e32 vcc, 0, v4
	v_cndmask_b32_e64 v4, 0, 1, vcc
	v_lshl_or_b32 v12, v4, 9, v0
	v_cmp_eq_u32_e32 vcc, s10, v6
	v_cndmask_b32_e32 v12, v9, v12, vcc
	ds_read2_b32 v[8:9], v8 offset0:14 offset1:245
	v_mad_u64_u32 v[4:5], s[0:1], s8, v39, 0
	v_lshrrev_b32_e32 v7, 16, v7
	v_and_or_b32 v12, v7, s11, v12
	v_mad_u64_u32 v[5:6], s[0:1], s9, v39, v[5:6]
	s_waitcnt lgkmcnt(0)
	v_lshrrev_b32_e32 v13, 16, v9
	v_mul_f16_sdwa v6, v40, v13 dst_sel:DWORD dst_unused:UNUSED_PAD src0_sel:WORD_1 src1_sel:DWORD
	v_fma_f16 v6, v40, v9, v6
	v_cvt_f32_f16_e32 v6, v6
	v_lshlrev_b64 v[2:3], 2, v[2:3]
	v_and_b32_e32 v11, 0xffff, v11
	v_lshl_or_b32 v11, v12, 16, v11
	v_cvt_f64_f32_e32 v[6:7], v6
	v_mov_b32_e32 v12, s5
	v_add_co_u32_e32 v14, vcc, s4, v2
	v_mul_f64 v[6:7], v[6:7], s[2:3]
	v_addc_co_u32_e32 v12, vcc, v12, v3, vcc
	v_lshlrev_b64 v[2:3], 2, v[4:5]
	v_mul_f16_sdwa v9, v40, v9 dst_sel:DWORD dst_unused:UNUSED_PAD src0_sel:WORD_1 src1_sel:DWORD
	v_add_co_u32_e32 v2, vcc, v14, v2
	v_addc_co_u32_e32 v3, vcc, v12, v3, vcc
	v_and_or_b32 v4, v7, s6, v6
	v_cmp_ne_u32_e32 vcc, 0, v4
	v_cndmask_b32_e64 v4, 0, 1, vcc
	v_lshrrev_b32_e32 v5, 8, v7
	v_and_or_b32 v6, v5, s7, v4
	v_bfe_u32 v5, v7, 20, 11
	global_store_dword v[2:3], v11, off
	v_sub_u32_e32 v11, 0x3f1, v5
	v_or_b32_e32 v4, 0x1000, v6
	v_med3_i32 v11, v11, 0, 13
	v_lshrrev_b32_e32 v12, v11, v4
	v_lshlrev_b32_e32 v11, v11, v12
	v_cmp_ne_u32_e32 vcc, v11, v4
	v_fma_f16 v9, v40, v13, -v9
	v_cndmask_b32_e64 v4, 0, 1, vcc
	v_add_u32_e32 v11, 0xfffffc10, v5
	v_cvt_f32_f16_e32 v9, v9
	v_or_b32_e32 v4, v12, v4
	v_lshl_or_b32 v5, v11, 12, v6
	v_cmp_gt_i32_e32 vcc, 1, v11
	v_cndmask_b32_e32 v4, v5, v4, vcc
	v_and_b32_e32 v5, 7, v4
	v_cmp_lt_i32_e32 vcc, 5, v5
	v_cmp_eq_u32_e64 s[0:1], 3, v5
	v_lshrrev_b32_e32 v12, 2, v4
	v_cvt_f64_f32_e32 v[4:5], v9
	s_or_b64 vcc, s[0:1], vcc
	v_addc_co_u32_e32 v9, vcc, 0, v12, vcc
	v_mul_f64 v[4:5], v[4:5], s[2:3]
	v_cmp_gt_i32_e32 vcc, 31, v11
	v_cndmask_b32_e32 v9, v0, v9, vcc
	v_cmp_ne_u32_e32 vcc, 0, v6
	v_cndmask_b32_e64 v6, 0, 1, vcc
	v_lshl_or_b32 v6, v6, 9, v0
	v_cmp_eq_u32_e32 vcc, s10, v11
	v_cndmask_b32_e32 v6, v9, v6, vcc
	v_and_or_b32 v4, v5, s6, v4
	v_lshrrev_b32_e32 v7, 16, v7
	v_cmp_ne_u32_e32 vcc, 0, v4
	v_and_or_b32 v6, v7, s11, v6
	v_cndmask_b32_e64 v4, 0, 1, vcc
	v_lshrrev_b32_e32 v7, 8, v5
	v_bfe_u32 v9, v5, 20, 11
	v_and_or_b32 v4, v7, s7, v4
	v_sub_u32_e32 v11, 0x3f1, v9
	v_or_b32_e32 v7, 0x1000, v4
	v_med3_i32 v11, v11, 0, 13
	v_lshrrev_b32_e32 v12, v11, v7
	v_lshlrev_b32_e32 v11, v11, v12
	v_cmp_ne_u32_e32 vcc, v11, v7
	v_cndmask_b32_e64 v7, 0, 1, vcc
	v_add_u32_e32 v9, 0xfffffc10, v9
	v_or_b32_e32 v7, v12, v7
	v_lshl_or_b32 v11, v9, 12, v4
	v_cmp_gt_i32_e32 vcc, 1, v9
	v_cndmask_b32_e32 v7, v11, v7, vcc
	v_and_b32_e32 v11, 7, v7
	v_cmp_lt_i32_e32 vcc, 5, v11
	v_cmp_eq_u32_e64 s[0:1], 3, v11
	v_lshrrev_b32_e32 v7, 2, v7
	s_or_b64 vcc, s[0:1], vcc
	v_addc_co_u32_e32 v7, vcc, 0, v7, vcc
	v_cmp_gt_i32_e32 vcc, 31, v9
	v_cndmask_b32_e32 v7, v0, v7, vcc
	v_cmp_ne_u32_e32 vcc, 0, v4
	v_cndmask_b32_e64 v4, 0, 1, vcc
	v_lshl_or_b32 v4, v4, 9, v0
	v_cmp_eq_u32_e32 vcc, s10, v9
	v_cndmask_b32_e32 v4, v7, v4, vcc
	v_lshrrev_b32_e32 v7, 16, v1
	v_mul_f16_sdwa v9, v38, v7 dst_sel:DWORD dst_unused:UNUSED_PAD src0_sel:WORD_1 src1_sel:DWORD
	v_fma_f16 v9, v38, v1, v9
	v_cvt_f32_f16_e32 v9, v9
	v_lshrrev_b32_e32 v5, 16, v5
	v_and_or_b32 v4, v5, s11, v4
	v_and_b32_e32 v5, 0xffff, v6
	v_lshl_or_b32 v6, v4, 16, v5
	v_cvt_f64_f32_e32 v[4:5], v9
	s_mul_i32 s0, s9, 0xad4
	s_mul_hi_u32 s4, s8, 0xad4
	s_add_i32 s4, s4, s0
	v_mul_f64 v[4:5], v[4:5], s[2:3]
	s_mul_i32 s5, s8, 0xad4
	v_mov_b32_e32 v9, s4
	v_add_co_u32_e32 v2, vcc, s5, v2
	v_addc_co_u32_e32 v3, vcc, v3, v9, vcc
	global_store_dword v[2:3], v6, off
	v_and_or_b32 v4, v5, s6, v4
	v_cmp_ne_u32_e32 vcc, 0, v4
	v_cndmask_b32_e64 v4, 0, 1, vcc
	v_lshrrev_b32_e32 v6, 8, v5
	v_bfe_u32 v9, v5, 20, 11
	v_and_or_b32 v4, v6, s7, v4
	v_sub_u32_e32 v11, 0x3f1, v9
	v_or_b32_e32 v6, 0x1000, v4
	v_med3_i32 v11, v11, 0, 13
	v_lshrrev_b32_e32 v12, v11, v6
	v_lshlrev_b32_e32 v11, v11, v12
	v_mul_f16_sdwa v1, v38, v1 dst_sel:DWORD dst_unused:UNUSED_PAD src0_sel:WORD_1 src1_sel:DWORD
	v_cmp_ne_u32_e32 vcc, v11, v6
	v_fma_f16 v1, v38, v7, -v1
	v_cndmask_b32_e64 v6, 0, 1, vcc
	v_add_u32_e32 v9, 0xfffffc10, v9
	v_cvt_f32_f16_e32 v1, v1
	v_or_b32_e32 v6, v12, v6
	v_lshl_or_b32 v11, v9, 12, v4
	v_cmp_gt_i32_e32 vcc, 1, v9
	v_cndmask_b32_e32 v6, v11, v6, vcc
	v_and_b32_e32 v11, 7, v6
	v_cmp_lt_i32_e32 vcc, 5, v11
	v_cmp_eq_u32_e64 s[0:1], 3, v11
	v_lshrrev_b32_e32 v11, 2, v6
	v_cvt_f64_f32_e32 v[6:7], v1
	s_or_b64 vcc, s[0:1], vcc
	v_addc_co_u32_e32 v1, vcc, 0, v11, vcc
	v_mul_f64 v[6:7], v[6:7], s[2:3]
	v_cmp_gt_i32_e32 vcc, 31, v9
	v_cndmask_b32_e32 v1, v0, v1, vcc
	v_cmp_ne_u32_e32 vcc, 0, v4
	v_cndmask_b32_e64 v4, 0, 1, vcc
	v_lshl_or_b32 v4, v4, 9, v0
	v_cmp_eq_u32_e32 vcc, s10, v9
	v_cndmask_b32_e32 v1, v1, v4, vcc
	v_lshrrev_b32_e32 v4, 16, v5
	v_and_or_b32 v1, v4, s11, v1
	v_and_or_b32 v4, v7, s6, v6
	v_cmp_ne_u32_e32 vcc, 0, v4
	v_cndmask_b32_e64 v4, 0, 1, vcc
	v_lshrrev_b32_e32 v5, 8, v7
	v_and_or_b32 v6, v5, s7, v4
	v_bfe_u32 v5, v7, 20, 11
	v_sub_u32_e32 v9, 0x3f1, v5
	v_or_b32_e32 v4, 0x1000, v6
	v_med3_i32 v9, v9, 0, 13
	v_lshrrev_b32_e32 v11, v9, v4
	v_lshlrev_b32_e32 v9, v9, v11
	v_cmp_ne_u32_e32 vcc, v9, v4
	v_cndmask_b32_e64 v4, 0, 1, vcc
	v_add_u32_e32 v9, 0xfffffc10, v5
	v_or_b32_e32 v4, v11, v4
	v_lshl_or_b32 v5, v9, 12, v6
	v_cmp_gt_i32_e32 vcc, 1, v9
	v_cndmask_b32_e32 v4, v5, v4, vcc
	v_and_b32_e32 v5, 7, v4
	v_cmp_lt_i32_e32 vcc, 5, v5
	v_cmp_eq_u32_e64 s[0:1], 3, v5
	v_lshrrev_b32_e32 v4, 2, v4
	s_or_b64 vcc, s[0:1], vcc
	v_addc_co_u32_e32 v11, vcc, 0, v4, vcc
	ds_read2_b32 v[4:5], v10 offset0:12 offset1:243
	v_cmp_gt_i32_e32 vcc, 31, v9
	v_cndmask_b32_e32 v10, v0, v11, vcc
	v_cmp_ne_u32_e32 vcc, 0, v6
	v_cndmask_b32_e64 v6, 0, 1, vcc
	s_waitcnt lgkmcnt(0)
	v_lshrrev_b32_e32 v11, 16, v4
	v_mul_f16_sdwa v12, v37, v11 dst_sel:DWORD dst_unused:UNUSED_PAD src0_sel:WORD_1 src1_sel:DWORD
	v_fma_f16 v12, v37, v4, v12
	v_cvt_f32_f16_e32 v12, v12
	v_lshl_or_b32 v6, v6, 9, v0
	v_cmp_eq_u32_e32 vcc, s10, v9
	v_cndmask_b32_e32 v9, v10, v6, vcc
	v_lshrrev_b32_e32 v10, 16, v7
	v_cvt_f64_f32_e32 v[6:7], v12
	v_mov_b32_e32 v12, 0xfffff8c8
	v_and_or_b32 v9, v10, s11, v9
	v_and_b32_e32 v10, 0xffff, v1
	v_mul_f64 v[6:7], v[6:7], s[2:3]
	v_mad_u64_u32 v[1:2], s[0:1], s8, v12, v[2:3]
	s_mul_i32 s0, s9, 0xfffff8c8
	s_sub_i32 s9, s0, s8
	v_lshl_or_b32 v3, v9, 16, v10
	v_add_u32_e32 v2, s9, v2
	global_store_dword v[1:2], v3, off
	v_and_or_b32 v3, v7, s6, v6
	v_cmp_ne_u32_e32 vcc, 0, v3
	v_cndmask_b32_e64 v3, 0, 1, vcc
	v_lshrrev_b32_e32 v6, 8, v7
	v_bfe_u32 v9, v7, 20, 11
	v_and_or_b32 v6, v6, s7, v3
	v_sub_u32_e32 v10, 0x3f1, v9
	v_or_b32_e32 v3, 0x1000, v6
	v_med3_i32 v10, v10, 0, 13
	v_lshrrev_b32_e32 v13, v10, v3
	v_lshlrev_b32_e32 v10, v10, v13
	v_mul_f16_sdwa v4, v37, v4 dst_sel:DWORD dst_unused:UNUSED_PAD src0_sel:WORD_1 src1_sel:DWORD
	v_cmp_ne_u32_e32 vcc, v10, v3
	v_fma_f16 v4, v37, v11, -v4
	v_cndmask_b32_e64 v3, 0, 1, vcc
	v_add_u32_e32 v9, 0xfffffc10, v9
	v_cvt_f32_f16_e32 v4, v4
	v_or_b32_e32 v3, v13, v3
	v_lshl_or_b32 v10, v9, 12, v6
	v_cmp_gt_i32_e32 vcc, 1, v9
	v_cndmask_b32_e32 v3, v10, v3, vcc
	v_and_b32_e32 v10, 7, v3
	v_cmp_lt_i32_e32 vcc, 5, v10
	v_cmp_eq_u32_e64 s[0:1], 3, v10
	v_lshrrev_b32_e32 v10, 2, v3
	v_cvt_f64_f32_e32 v[3:4], v4
	s_or_b64 vcc, s[0:1], vcc
	v_addc_co_u32_e32 v10, vcc, 0, v10, vcc
	v_mul_f64 v[3:4], v[3:4], s[2:3]
	v_cmp_gt_i32_e32 vcc, 31, v9
	v_cndmask_b32_e32 v10, v0, v10, vcc
	v_cmp_ne_u32_e32 vcc, 0, v6
	v_cndmask_b32_e64 v6, 0, 1, vcc
	v_lshl_or_b32 v6, v6, 9, v0
	v_cmp_eq_u32_e32 vcc, s10, v9
	v_cndmask_b32_e32 v6, v10, v6, vcc
	v_and_or_b32 v3, v4, s6, v3
	v_lshrrev_b32_e32 v7, 16, v7
	v_cmp_ne_u32_e32 vcc, 0, v3
	v_and_or_b32 v9, v7, s11, v6
	v_cndmask_b32_e64 v3, 0, 1, vcc
	v_lshrrev_b32_e32 v6, 8, v4
	v_bfe_u32 v7, v4, 20, 11
	v_and_or_b32 v3, v6, s7, v3
	v_sub_u32_e32 v10, 0x3f1, v7
	v_or_b32_e32 v6, 0x1000, v3
	v_med3_i32 v10, v10, 0, 13
	v_lshrrev_b32_e32 v11, v10, v6
	v_lshlrev_b32_e32 v10, v10, v11
	v_cmp_ne_u32_e32 vcc, v10, v6
	v_cndmask_b32_e64 v6, 0, 1, vcc
	v_add_u32_e32 v7, 0xfffffc10, v7
	v_or_b32_e32 v6, v11, v6
	v_lshl_or_b32 v10, v7, 12, v3
	v_cmp_gt_i32_e32 vcc, 1, v7
	v_cndmask_b32_e32 v6, v10, v6, vcc
	v_and_b32_e32 v10, 7, v6
	v_cmp_lt_i32_e32 vcc, 5, v10
	v_cmp_eq_u32_e64 s[0:1], 3, v10
	v_lshrrev_b32_e32 v10, 16, v8
	v_lshrrev_b32_e32 v6, 2, v6
	s_or_b64 vcc, s[0:1], vcc
	v_mul_f16_sdwa v11, v36, v10 dst_sel:DWORD dst_unused:UNUSED_PAD src0_sel:WORD_1 src1_sel:DWORD
	v_addc_co_u32_e32 v6, vcc, 0, v6, vcc
	v_fma_f16 v11, v36, v8, v11
	v_cmp_gt_i32_e32 vcc, 31, v7
	v_cvt_f32_f16_e32 v11, v11
	v_cndmask_b32_e32 v6, v0, v6, vcc
	v_cmp_ne_u32_e32 vcc, 0, v3
	v_cndmask_b32_e64 v3, 0, 1, vcc
	v_lshl_or_b32 v3, v3, 9, v0
	v_cmp_eq_u32_e32 vcc, s10, v7
	v_cndmask_b32_e32 v3, v6, v3, vcc
	v_cvt_f64_f32_e32 v[6:7], v11
	v_lshrrev_b32_e32 v4, 16, v4
	v_and_or_b32 v11, v4, s11, v3
	v_add_co_u32_e32 v1, vcc, s5, v1
	v_mul_f64 v[3:4], v[6:7], s[2:3]
	v_mov_b32_e32 v7, s4
	v_and_b32_e32 v9, 0xffff, v9
	v_addc_co_u32_e32 v2, vcc, v2, v7, vcc
	v_lshl_or_b32 v6, v11, 16, v9
	global_store_dword v[1:2], v6, off
	v_mul_f16_sdwa v8, v36, v8 dst_sel:DWORD dst_unused:UNUSED_PAD src0_sel:WORD_1 src1_sel:DWORD
	v_and_or_b32 v3, v4, s6, v3
	v_cmp_ne_u32_e32 vcc, 0, v3
	v_cndmask_b32_e64 v3, 0, 1, vcc
	v_lshrrev_b32_e32 v6, 8, v4
	v_bfe_u32 v7, v4, 20, 11
	v_and_or_b32 v3, v6, s7, v3
	v_sub_u32_e32 v9, 0x3f1, v7
	v_or_b32_e32 v6, 0x1000, v3
	v_med3_i32 v9, v9, 0, 13
	v_lshrrev_b32_e32 v11, v9, v6
	v_lshlrev_b32_e32 v9, v9, v11
	v_cmp_ne_u32_e32 vcc, v9, v6
	v_fma_f16 v8, v36, v10, -v8
	v_cndmask_b32_e64 v6, 0, 1, vcc
	v_add_u32_e32 v9, 0xfffffc10, v7
	v_cvt_f32_f16_e32 v8, v8
	v_or_b32_e32 v6, v11, v6
	v_lshl_or_b32 v7, v9, 12, v3
	v_cmp_gt_i32_e32 vcc, 1, v9
	v_cndmask_b32_e32 v6, v7, v6, vcc
	v_and_b32_e32 v7, 7, v6
	v_cmp_lt_i32_e32 vcc, 5, v7
	v_cmp_eq_u32_e64 s[0:1], 3, v7
	v_lshrrev_b32_e32 v10, 2, v6
	v_cvt_f64_f32_e32 v[6:7], v8
	s_or_b64 vcc, s[0:1], vcc
	v_addc_co_u32_e32 v8, vcc, 0, v10, vcc
	v_mul_f64 v[6:7], v[6:7], s[2:3]
	v_cmp_gt_i32_e32 vcc, 31, v9
	v_cndmask_b32_e32 v8, v0, v8, vcc
	v_cmp_ne_u32_e32 vcc, 0, v3
	v_cndmask_b32_e64 v3, 0, 1, vcc
	v_lshl_or_b32 v3, v3, 9, v0
	v_cmp_eq_u32_e32 vcc, s10, v9
	v_cndmask_b32_e32 v3, v8, v3, vcc
	v_lshrrev_b32_e32 v4, 16, v4
	v_and_or_b32 v8, v4, s11, v3
	v_and_or_b32 v3, v7, s6, v6
	v_cmp_ne_u32_e32 vcc, 0, v3
	v_cndmask_b32_e64 v3, 0, 1, vcc
	v_lshrrev_b32_e32 v4, 8, v7
	v_bfe_u32 v6, v7, 20, 11
	v_and_or_b32 v3, v4, s7, v3
	v_sub_u32_e32 v9, 0x3f1, v6
	v_or_b32_e32 v4, 0x1000, v3
	v_med3_i32 v9, v9, 0, 13
	v_lshrrev_b32_e32 v10, v9, v4
	v_lshlrev_b32_e32 v9, v9, v10
	v_cmp_ne_u32_e32 vcc, v9, v4
	v_cndmask_b32_e64 v4, 0, 1, vcc
	v_add_u32_e32 v6, 0xfffffc10, v6
	v_or_b32_e32 v4, v10, v4
	v_lshl_or_b32 v9, v6, 12, v3
	v_cmp_gt_i32_e32 vcc, 1, v6
	v_cndmask_b32_e32 v4, v9, v4, vcc
	v_and_b32_e32 v9, 7, v4
	v_cmp_lt_i32_e32 vcc, 5, v9
	v_cmp_eq_u32_e64 s[0:1], 3, v9
	v_lshrrev_b32_e32 v4, 2, v4
	s_or_b64 vcc, s[0:1], vcc
	v_addc_co_u32_e32 v4, vcc, 0, v4, vcc
	v_cmp_gt_i32_e32 vcc, 31, v6
	v_lshrrev_b32_e32 v10, 16, v5
	v_cndmask_b32_e32 v9, v0, v4, vcc
	v_mul_f16_sdwa v4, v35, v10 dst_sel:DWORD dst_unused:UNUSED_PAD src0_sel:WORD_1 src1_sel:DWORD
	v_fma_f16 v4, v35, v5, v4
	v_cvt_f32_f16_e32 v4, v4
	v_cmp_ne_u32_e32 vcc, 0, v3
	v_cndmask_b32_e64 v3, 0, 1, vcc
	v_lshl_or_b32 v11, v3, 9, v0
	v_cvt_f64_f32_e32 v[3:4], v4
	v_mad_u64_u32 v[1:2], s[0:1], s8, v12, v[1:2]
	v_cmp_eq_u32_e32 vcc, s10, v6
	v_mul_f64 v[3:4], v[3:4], s[2:3]
	v_cndmask_b32_e32 v6, v9, v11, vcc
	v_lshrrev_b32_e32 v7, 16, v7
	v_and_or_b32 v6, v7, s11, v6
	v_and_b32_e32 v7, 0xffff, v8
	v_lshl_or_b32 v6, v6, 16, v7
	v_add_u32_e32 v2, s9, v2
	global_store_dword v[1:2], v6, off
	v_and_or_b32 v3, v4, s6, v3
	v_cmp_ne_u32_e32 vcc, 0, v3
	v_cndmask_b32_e64 v3, 0, 1, vcc
	v_lshrrev_b32_e32 v6, 8, v4
	v_bfe_u32 v7, v4, 20, 11
	v_and_or_b32 v3, v6, s7, v3
	v_sub_u32_e32 v8, 0x3f1, v7
	v_or_b32_e32 v6, 0x1000, v3
	v_med3_i32 v8, v8, 0, 13
	v_lshrrev_b32_e32 v9, v8, v6
	v_lshlrev_b32_e32 v8, v8, v9
	v_mul_f16_sdwa v5, v35, v5 dst_sel:DWORD dst_unused:UNUSED_PAD src0_sel:WORD_1 src1_sel:DWORD
	v_cmp_ne_u32_e32 vcc, v8, v6
	v_fma_f16 v5, v35, v10, -v5
	v_cndmask_b32_e64 v6, 0, 1, vcc
	v_add_u32_e32 v7, 0xfffffc10, v7
	v_cvt_f32_f16_e32 v5, v5
	v_or_b32_e32 v6, v9, v6
	v_lshl_or_b32 v8, v7, 12, v3
	v_cmp_gt_i32_e32 vcc, 1, v7
	v_cndmask_b32_e32 v6, v8, v6, vcc
	v_and_b32_e32 v8, 7, v6
	v_cmp_lt_i32_e32 vcc, 5, v8
	v_cmp_eq_u32_e64 s[0:1], 3, v8
	v_lshrrev_b32_e32 v8, 2, v6
	v_cvt_f64_f32_e32 v[5:6], v5
	s_or_b64 vcc, s[0:1], vcc
	v_addc_co_u32_e32 v8, vcc, 0, v8, vcc
	v_mul_f64 v[5:6], v[5:6], s[2:3]
	v_cmp_gt_i32_e32 vcc, 31, v7
	v_cndmask_b32_e32 v8, v0, v8, vcc
	v_cmp_ne_u32_e32 vcc, 0, v3
	v_cndmask_b32_e64 v3, 0, 1, vcc
	v_lshl_or_b32 v3, v3, 9, v0
	v_cmp_eq_u32_e32 vcc, s10, v7
	v_cndmask_b32_e32 v3, v8, v3, vcc
	v_lshrrev_b32_e32 v4, 16, v4
	v_and_or_b32 v3, v4, s11, v3
	v_and_or_b32 v4, v6, s6, v5
	v_cmp_ne_u32_e32 vcc, 0, v4
	v_cndmask_b32_e64 v4, 0, 1, vcc
	v_lshrrev_b32_e32 v5, 8, v6
	v_bfe_u32 v7, v6, 20, 11
	v_and_or_b32 v4, v5, s7, v4
	v_sub_u32_e32 v8, 0x3f1, v7
	v_or_b32_e32 v5, 0x1000, v4
	v_med3_i32 v8, v8, 0, 13
	v_lshrrev_b32_e32 v9, v8, v5
	v_lshlrev_b32_e32 v8, v8, v9
	v_cmp_ne_u32_e32 vcc, v8, v5
	v_cndmask_b32_e64 v5, 0, 1, vcc
	v_add_u32_e32 v7, 0xfffffc10, v7
	v_or_b32_e32 v5, v9, v5
	v_lshl_or_b32 v8, v7, 12, v4
	v_cmp_gt_i32_e32 vcc, 1, v7
	v_cndmask_b32_e32 v5, v8, v5, vcc
	v_and_b32_e32 v8, 7, v5
	v_cmp_lt_i32_e32 vcc, 5, v8
	v_cmp_eq_u32_e64 s[0:1], 3, v8
	v_lshrrev_b32_e32 v5, 2, v5
	s_or_b64 vcc, s[0:1], vcc
	v_addc_co_u32_e32 v5, vcc, 0, v5, vcc
	v_cmp_gt_i32_e32 vcc, 31, v7
	v_cndmask_b32_e32 v5, v0, v5, vcc
	v_cmp_ne_u32_e32 vcc, 0, v4
	v_cndmask_b32_e64 v4, 0, 1, vcc
	v_lshl_or_b32 v0, v4, 9, v0
	v_cmp_eq_u32_e32 vcc, s10, v7
	v_cndmask_b32_e32 v0, v5, v0, vcc
	v_lshrrev_b32_e32 v4, 16, v6
	v_and_or_b32 v0, v4, s11, v0
	v_and_b32_e32 v3, 0xffff, v3
	v_lshl_or_b32 v3, v0, 16, v3
	v_mov_b32_e32 v4, s4
	v_add_co_u32_e32 v0, vcc, s5, v1
	v_addc_co_u32_e32 v1, vcc, v2, v4, vcc
	global_store_dword v[0:1], v3, off
.LBB0_18:
	s_endpgm
	.section	.rodata,"a",@progbits
	.p2align	6, 0x0
	.amdhsa_kernel bluestein_single_back_len1386_dim1_half_op_CI_CI
		.amdhsa_group_segment_fixed_size 5544
		.amdhsa_private_segment_fixed_size 0
		.amdhsa_kernarg_size 104
		.amdhsa_user_sgpr_count 6
		.amdhsa_user_sgpr_private_segment_buffer 1
		.amdhsa_user_sgpr_dispatch_ptr 0
		.amdhsa_user_sgpr_queue_ptr 0
		.amdhsa_user_sgpr_kernarg_segment_ptr 1
		.amdhsa_user_sgpr_dispatch_id 0
		.amdhsa_user_sgpr_flat_scratch_init 0
		.amdhsa_user_sgpr_private_segment_size 0
		.amdhsa_uses_dynamic_stack 0
		.amdhsa_system_sgpr_private_segment_wavefront_offset 0
		.amdhsa_system_sgpr_workgroup_id_x 1
		.amdhsa_system_sgpr_workgroup_id_y 0
		.amdhsa_system_sgpr_workgroup_id_z 0
		.amdhsa_system_sgpr_workgroup_info 0
		.amdhsa_system_vgpr_workitem_id 0
		.amdhsa_next_free_vgpr 171
		.amdhsa_next_free_sgpr 23
		.amdhsa_reserve_vcc 1
		.amdhsa_reserve_flat_scratch 0
		.amdhsa_float_round_mode_32 0
		.amdhsa_float_round_mode_16_64 0
		.amdhsa_float_denorm_mode_32 3
		.amdhsa_float_denorm_mode_16_64 3
		.amdhsa_dx10_clamp 1
		.amdhsa_ieee_mode 1
		.amdhsa_fp16_overflow 0
		.amdhsa_exception_fp_ieee_invalid_op 0
		.amdhsa_exception_fp_denorm_src 0
		.amdhsa_exception_fp_ieee_div_zero 0
		.amdhsa_exception_fp_ieee_overflow 0
		.amdhsa_exception_fp_ieee_underflow 0
		.amdhsa_exception_fp_ieee_inexact 0
		.amdhsa_exception_int_div_zero 0
	.end_amdhsa_kernel
	.text
.Lfunc_end0:
	.size	bluestein_single_back_len1386_dim1_half_op_CI_CI, .Lfunc_end0-bluestein_single_back_len1386_dim1_half_op_CI_CI
                                        ; -- End function
	.section	.AMDGPU.csdata,"",@progbits
; Kernel info:
; codeLenInByte = 13800
; NumSgprs: 27
; NumVgprs: 171
; ScratchSize: 0
; MemoryBound: 0
; FloatMode: 240
; IeeeMode: 1
; LDSByteSize: 5544 bytes/workgroup (compile time only)
; SGPRBlocks: 3
; VGPRBlocks: 42
; NumSGPRsForWavesPerEU: 27
; NumVGPRsForWavesPerEU: 171
; Occupancy: 1
; WaveLimiterHint : 1
; COMPUTE_PGM_RSRC2:SCRATCH_EN: 0
; COMPUTE_PGM_RSRC2:USER_SGPR: 6
; COMPUTE_PGM_RSRC2:TRAP_HANDLER: 0
; COMPUTE_PGM_RSRC2:TGID_X_EN: 1
; COMPUTE_PGM_RSRC2:TGID_Y_EN: 0
; COMPUTE_PGM_RSRC2:TGID_Z_EN: 0
; COMPUTE_PGM_RSRC2:TIDIG_COMP_CNT: 0
	.type	__hip_cuid_5bd247823390d7ed,@object ; @__hip_cuid_5bd247823390d7ed
	.section	.bss,"aw",@nobits
	.globl	__hip_cuid_5bd247823390d7ed
__hip_cuid_5bd247823390d7ed:
	.byte	0                               ; 0x0
	.size	__hip_cuid_5bd247823390d7ed, 1

	.ident	"AMD clang version 19.0.0git (https://github.com/RadeonOpenCompute/llvm-project roc-6.4.0 25133 c7fe45cf4b819c5991fe208aaa96edf142730f1d)"
	.section	".note.GNU-stack","",@progbits
	.addrsig
	.addrsig_sym __hip_cuid_5bd247823390d7ed
	.amdgpu_metadata
---
amdhsa.kernels:
  - .args:
      - .actual_access:  read_only
        .address_space:  global
        .offset:         0
        .size:           8
        .value_kind:     global_buffer
      - .actual_access:  read_only
        .address_space:  global
        .offset:         8
        .size:           8
        .value_kind:     global_buffer
      - .actual_access:  read_only
        .address_space:  global
        .offset:         16
        .size:           8
        .value_kind:     global_buffer
      - .actual_access:  read_only
        .address_space:  global
        .offset:         24
        .size:           8
        .value_kind:     global_buffer
      - .actual_access:  read_only
        .address_space:  global
        .offset:         32
        .size:           8
        .value_kind:     global_buffer
      - .offset:         40
        .size:           8
        .value_kind:     by_value
      - .address_space:  global
        .offset:         48
        .size:           8
        .value_kind:     global_buffer
      - .address_space:  global
        .offset:         56
        .size:           8
        .value_kind:     global_buffer
      - .address_space:  global
        .offset:         64
        .size:           8
        .value_kind:     global_buffer
      - .address_space:  global
        .offset:         72
        .size:           8
        .value_kind:     global_buffer
      - .offset:         80
        .size:           4
        .value_kind:     by_value
      - .address_space:  global
        .offset:         88
        .size:           8
        .value_kind:     global_buffer
      - .address_space:  global
        .offset:         96
        .size:           8
        .value_kind:     global_buffer
    .group_segment_fixed_size: 5544
    .kernarg_segment_align: 8
    .kernarg_segment_size: 104
    .language:       OpenCL C
    .language_version:
      - 2
      - 0
    .max_flat_workgroup_size: 231
    .name:           bluestein_single_back_len1386_dim1_half_op_CI_CI
    .private_segment_fixed_size: 0
    .sgpr_count:     27
    .sgpr_spill_count: 0
    .symbol:         bluestein_single_back_len1386_dim1_half_op_CI_CI.kd
    .uniform_work_group_size: 1
    .uses_dynamic_stack: false
    .vgpr_count:     171
    .vgpr_spill_count: 0
    .wavefront_size: 64
amdhsa.target:   amdgcn-amd-amdhsa--gfx906
amdhsa.version:
  - 1
  - 2
...

	.end_amdgpu_metadata
